;; amdgpu-corpus repo=ROCm/rocFFT kind=compiled arch=gfx1201 opt=O3
	.text
	.amdgcn_target "amdgcn-amd-amdhsa--gfx1201"
	.amdhsa_code_object_version 6
	.protected	bluestein_single_fwd_len1632_dim1_sp_op_CI_CI ; -- Begin function bluestein_single_fwd_len1632_dim1_sp_op_CI_CI
	.globl	bluestein_single_fwd_len1632_dim1_sp_op_CI_CI
	.p2align	8
	.type	bluestein_single_fwd_len1632_dim1_sp_op_CI_CI,@function
bluestein_single_fwd_len1632_dim1_sp_op_CI_CI: ; @bluestein_single_fwd_len1632_dim1_sp_op_CI_CI
; %bb.0:
	s_load_b128 s[4:7], s[0:1], 0x28
	v_mul_u32_u24_e32 v1, 0x283, v0
	s_mov_b32 s2, exec_lo
	v_mov_b32_e32 v243, 0
	s_delay_alu instid0(VALU_DEP_2) | instskip(NEXT) | instid1(VALU_DEP_1)
	v_lshrrev_b32_e32 v1, 16, v1
	v_add_nc_u32_e32 v242, ttmp9, v1
	s_wait_kmcnt 0x0
	s_delay_alu instid0(VALU_DEP_1)
	v_cmpx_gt_u64_e64 s[4:5], v[242:243]
	s_cbranch_execz .LBB0_23
; %bb.1:
	v_mul_lo_u16 v1, 0x66, v1
	s_clause 0x1
	s_load_b64 s[12:13], s[0:1], 0x0
	s_load_b64 s[14:15], s[0:1], 0x38
	s_delay_alu instid0(VALU_DEP_1) | instskip(NEXT) | instid1(VALU_DEP_1)
	v_sub_nc_u16 v0, v0, v1
	v_and_b32_e32 v128, 0xffff, v0
	v_cmp_gt_u16_e32 vcc_lo, 0x60, v0
	s_delay_alu instid0(VALU_DEP_2)
	v_lshlrev_b32_e32 v124, 3, v128
	v_or_b32_e32 v241, 0x180, v128
	v_or_b32_e32 v240, 0x300, v128
	;; [unrolled: 1-line block ×4, first 2 shown]
	s_and_saveexec_b32 s3, vcc_lo
	s_cbranch_execz .LBB0_3
; %bb.2:
	s_load_b64 s[4:5], s[0:1], 0x18
	v_add_nc_u32_e32 v74, 0x400, v124
	v_add_nc_u32_e32 v76, 0x1000, v124
	;; [unrolled: 1-line block ×3, first 2 shown]
	s_wait_kmcnt 0x0
	s_load_b128 s[8:11], s[4:5], 0x0
	s_clause 0x5
	global_load_b64 v[0:1], v124, s[12:13]
	global_load_b64 v[2:3], v124, s[12:13] offset:768
	global_load_b64 v[4:5], v124, s[12:13] offset:3072
	;; [unrolled: 1-line block ×5, first 2 shown]
	s_wait_kmcnt 0x0
	v_mad_co_u64_u32 v[8:9], null, s10, v242, 0
	v_mad_co_u64_u32 v[10:11], null, s8, v128, 0
	;; [unrolled: 1-line block ×5, first 2 shown]
	s_delay_alu instid0(VALU_DEP_4) | instskip(NEXT) | instid1(VALU_DEP_4)
	v_mad_co_u64_u32 v[24:25], null, s11, v242, v[9:10]
	v_mad_co_u64_u32 v[25:26], null, s9, v128, v[11:12]
	v_mad_co_u64_u32 v[18:19], null, s8, v238, 0
	v_mad_co_u64_u32 v[26:27], null, s9, v241, v[13:14]
	s_delay_alu instid0(VALU_DEP_4) | instskip(SKIP_3) | instid1(VALU_DEP_4)
	v_mov_b32_e32 v9, v24
	v_mad_co_u64_u32 v[27:28], null, s9, v240, v[15:16]
	v_mov_b32_e32 v11, v25
	v_mad_co_u64_u32 v[28:29], null, s9, v239, v[17:18]
	v_lshlrev_b64_e32 v[8:9], 3, v[8:9]
	v_mov_b32_e32 v13, v26
	s_delay_alu instid0(VALU_DEP_4) | instskip(SKIP_2) | instid1(VALU_DEP_4)
	v_lshlrev_b64_e32 v[10:11], 3, v[10:11]
	v_mov_b32_e32 v15, v27
	s_mul_u64 s[4:5], s[8:9], 0x300
	v_add_co_u32 v24, s2, s6, v8
	s_delay_alu instid0(VALU_DEP_1) | instskip(SKIP_1) | instid1(VALU_DEP_3)
	v_add_co_ci_u32_e64 v25, s2, s7, v9, s2
	v_lshlrev_b64_e32 v[12:13], 3, v[12:13]
	v_add_co_u32 v10, s2, v24, v10
	s_wait_alu 0xf1ff
	s_delay_alu instid0(VALU_DEP_3) | instskip(SKIP_1) | instid1(VALU_DEP_4)
	v_add_co_ci_u32_e64 v11, s2, v25, v11, s2
	v_lshlrev_b64_e32 v[14:15], 3, v[14:15]
	v_add_co_u32 v12, s2, v24, v12
	s_wait_alu 0xf1ff
	v_add_co_ci_u32_e64 v13, s2, v25, v13, s2
	s_delay_alu instid0(VALU_DEP_3)
	v_add_co_u32 v14, s2, v24, v14
	s_wait_alu 0xf1ff
	v_add_co_ci_u32_e64 v15, s2, v25, v15, s2
	s_wait_loadcnt 0x1
	v_mad_co_u64_u32 v[29:30], null, s9, v238, v[19:20]
	s_mul_u64 s[8:9], s[8:9], 0x600
	s_delay_alu instid0(VALU_DEP_1) | instskip(NEXT) | instid1(VALU_DEP_1)
	v_mov_b32_e32 v19, v29
	v_lshlrev_b64_e32 v[8:9], 3, v[18:19]
	global_load_b64 v[18:19], v[10:11], off
	v_mov_b32_e32 v17, v28
	s_clause 0x1
	global_load_b64 v[12:13], v[12:13], off
	global_load_b64 v[14:15], v[14:15], off
	s_wait_loadcnt 0x2
	v_mul_f32_e32 v68, v19, v1
	v_lshlrev_b64_e32 v[16:17], 3, v[16:17]
	s_wait_loadcnt 0x1
	v_mul_f32_e32 v70, v13, v5
	v_mul_f32_e32 v1, v18, v1
	v_fmac_f32_e32 v68, v18, v0
	s_delay_alu instid0(VALU_DEP_3)
	v_fmac_f32_e32 v70, v12, v4
	v_add_co_u32 v16, s2, v24, v16
	s_wait_alu 0xf1ff
	v_add_co_ci_u32_e64 v17, s2, v25, v17, s2
	v_add_co_u32 v8, s2, v24, v8
	s_wait_alu 0xf1ff
	v_add_co_ci_u32_e64 v9, s2, v25, v9, s2
	s_wait_alu 0xfffe
	v_add_co_u32 v10, s2, v10, s4
	s_wait_alu 0xf1ff
	v_add_co_ci_u32_e64 v11, s2, s5, v11, s2
	global_load_b64 v[16:17], v[16:17], off
	v_add_co_u32 v24, s2, v10, s4
	s_wait_alu 0xf1ff
	v_add_co_ci_u32_e64 v25, s2, s5, v11, s2
	global_load_b64 v[10:11], v[10:11], off
	;; [unrolled: 4-line block ×3, first 2 shown]
	v_add_co_u32 v28, s2, v26, s8
	s_wait_alu 0xf1ff
	v_add_co_ci_u32_e64 v29, s2, s9, v27, s2
	s_clause 0x1
	global_load_b64 v[32:33], v124, s[12:13] offset:1536
	global_load_b64 v[34:35], v124, s[12:13] offset:2304
	v_add_co_u32 v30, s2, v28, s4
	s_wait_alu 0xf1ff
	v_add_co_ci_u32_e64 v31, s2, s5, v29, s2
	v_add_nc_u32_e32 v75, 0x800, v124
	s_delay_alu instid0(VALU_DEP_3) | instskip(SKIP_1) | instid1(VALU_DEP_3)
	v_add_co_u32 v36, s2, v30, s4
	s_wait_alu 0xf1ff
	v_add_co_ci_u32_e64 v37, s2, s5, v31, s2
	s_clause 0x2
	global_load_b64 v[24:25], v[24:25], off
	global_load_b64 v[26:27], v[26:27], off
	;; [unrolled: 1-line block ×5, first 2 shown]
	v_add_co_u32 v36, s2, v36, s8
	s_wait_alu 0xf1ff
	v_add_co_ci_u32_e64 v37, s2, s9, v37, s2
	s_clause 0x2
	global_load_b64 v[40:41], v124, s[12:13] offset:3840
	global_load_b64 v[42:43], v124, s[12:13] offset:4608
	;; [unrolled: 1-line block ×3, first 2 shown]
	v_add_co_u32 v46, s2, v36, s4
	s_wait_alu 0xf1ff
	v_add_co_ci_u32_e64 v47, s2, s5, v37, s2
	global_load_b64 v[36:37], v[36:37], off
	v_add_co_u32 v48, s2, v46, s4
	s_wait_alu 0xf1ff
	v_add_co_ci_u32_e64 v49, s2, s5, v47, s2
	global_load_b64 v[50:51], v124, s[12:13] offset:6912
	v_add_co_u32 v52, s2, v48, s8
	s_wait_alu 0xf1ff
	v_add_co_ci_u32_e64 v53, s2, s9, v49, s2
	global_load_b64 v[46:47], v[46:47], off
	global_load_b64 v[48:49], v[48:49], off
	s_clause 0x1
	global_load_b64 v[54:55], v124, s[12:13] offset:7680
	global_load_b64 v[56:57], v124, s[12:13] offset:8448
	global_load_b64 v[58:59], v[52:53], off
	v_add_co_u32 v52, s2, v52, s4
	s_wait_alu 0xf1ff
	v_add_co_ci_u32_e64 v53, s2, s5, v53, s2
	global_load_b64 v[60:61], v124, s[12:13] offset:9984
	v_add_co_u32 v62, s2, v52, s4
	s_wait_alu 0xf1ff
	v_add_co_ci_u32_e64 v63, s2, s5, v53, s2
	global_load_b64 v[52:53], v[52:53], off
	s_clause 0x1
	global_load_b64 v[64:65], v124, s[12:13] offset:10752
	global_load_b64 v[66:67], v124, s[12:13] offset:11520
	global_load_b64 v[62:63], v[62:63], off
	v_add_nc_u32_e32 v77, 0x1800, v124
	v_mul_f32_e32 v71, v12, v5
	v_fma_f32 v69, v19, v0, -v1
	v_add_nc_u32_e32 v81, 0x2800, v124
	s_wait_loadcnt 0x18
	v_dual_mul_f32 v73, v14, v7 :: v_dual_mul_f32 v72, v17, v21
	v_mul_f32_e32 v5, v15, v7
	s_wait_loadcnt 0x17
	v_dual_mul_f32 v21, v16, v21 :: v_dual_mul_f32 v0, v11, v3
	v_mul_f32_e32 v1, v10, v3
	v_add_nc_u32_e32 v79, 0x2000, v124
	v_dual_fmac_f32 v72, v16, v20 :: v_dual_fmac_f32 v5, v14, v6
	s_wait_loadcnt 0x13
	v_dual_fmac_f32 v0, v10, v2 :: v_dual_mul_f32 v3, v25, v33
	s_wait_loadcnt 0x12
	v_mul_f32_e32 v10, v26, v35
	v_fma_f32 v71, v13, v4, -v71
	s_delay_alu instid0(VALU_DEP_3) | instskip(NEXT) | instid1(VALU_DEP_3)
	v_fmac_f32_e32 v3, v24, v32
	v_fma_f32 v10, v27, v34, -v10
	s_wait_loadcnt 0xe
	v_mul_f32_e32 v12, v28, v41
	v_fma_f32 v6, v15, v6, -v73
	s_delay_alu instid0(VALU_DEP_2)
	v_fma_f32 v12, v29, v40, -v12
	s_wait_loadcnt 0x6
	v_mul_f32_e32 v14, v48, v57
	v_fma_f32 v1, v11, v2, -v1
	v_mul_f32_e32 v2, v24, v33
	v_mul_f32_e32 v11, v29, v41
	;; [unrolled: 1-line block ×3, first 2 shown]
	v_fma_f32 v14, v49, v56, -v14
	s_wait_loadcnt 0x4
	v_mul_f32_e32 v15, v59, v61
	v_fma_f32 v4, v25, v32, -v2
	v_mul_f32_e32 v2, v31, v43
	v_mul_f32_e32 v7, v9, v23
	;; [unrolled: 1-line block ×3, first 2 shown]
	s_wait_loadcnt 0x2
	v_mul_f32_e32 v18, v52, v65
	v_fma_f32 v73, v17, v20, -v21
	v_fmac_f32_e32 v2, v30, v42
	v_fmac_f32_e32 v7, v8, v22
	v_fma_f32 v8, v9, v22, -v23
	v_mul_f32_e32 v9, v27, v35
	s_wait_loadcnt 0x0
	v_dual_mul_f32 v20, v62, v67 :: v_dual_fmac_f32 v11, v28, v40
	v_mul_f32_e32 v17, v53, v65
	v_mul_f32_e32 v19, v63, v67
	v_fmac_f32_e32 v9, v26, v34
	ds_store_2addr_b64 v124, v[68:69], v[0:1] offset1:96
	ds_store_2addr_b64 v74, v[3:4], v[9:10] offset0:64 offset1:160
	v_mul_f32_e32 v1, v30, v43
	v_mul_f32_e32 v4, v38, v45
	v_dual_mul_f32 v0, v39, v45 :: v_dual_mul_f32 v9, v37, v51
	v_mul_f32_e32 v10, v36, v51
	s_delay_alu instid0(VALU_DEP_4) | instskip(NEXT) | instid1(VALU_DEP_4)
	v_fma_f32 v3, v31, v42, -v1
	v_fma_f32 v1, v39, v44, -v4
	v_mul_f32_e32 v4, v46, v55
	ds_store_2addr_b64 v75, v[70:71], v[11:12] offset0:128 offset1:224
	v_dual_mul_f32 v11, v47, v55 :: v_dual_fmac_f32 v0, v38, v44
	v_fmac_f32_e32 v9, v36, v50
	v_fma_f32 v12, v47, v54, -v4
	v_mul_f32_e32 v4, v58, v61
	v_fma_f32 v10, v37, v50, -v10
	v_fmac_f32_e32 v11, v46, v54
	v_fmac_f32_e32 v13, v48, v56
	;; [unrolled: 1-line block ×3, first 2 shown]
	v_fma_f32 v16, v59, v60, -v4
	v_fmac_f32_e32 v17, v52, v64
	v_fma_f32 v18, v53, v64, -v18
	v_fmac_f32_e32 v19, v62, v66
	v_fma_f32 v20, v63, v66, -v20
	ds_store_2addr_b64 v76, v[2:3], v[0:1] offset0:64 offset1:160
	ds_store_2addr_b64 v77, v[5:6], v[9:10] offset1:96
	ds_store_2addr_b64 v78, v[11:12], v[13:14] offset0:64 offset1:160
	ds_store_2addr_b64 v79, v[72:73], v[15:16] offset0:128 offset1:224
	;; [unrolled: 1-line block ×3, first 2 shown]
	ds_store_b64 v124, v[7:8] offset:12288
.LBB0_3:
	s_or_b32 exec_lo, exec_lo, s3
	s_clause 0x1
	s_load_b64 s[4:5], s[0:1], 0x20
	s_load_b64 s[2:3], s[0:1], 0x8
	v_mov_b32_e32 v0, 0
	v_mov_b32_e32 v1, 0
                                        ; kill: def $vgpr2 killed $sgpr0 killed $exec
	global_wb scope:SCOPE_SE
	s_wait_dscnt 0x0
	s_wait_kmcnt 0x0
	s_barrier_signal -1
	s_barrier_wait -1
	global_inv scope:SCOPE_SE
                                        ; implicit-def: $vgpr6
                                        ; implicit-def: $vgpr32
                                        ; implicit-def: $vgpr10
                                        ; implicit-def: $vgpr14
                                        ; implicit-def: $vgpr22
                                        ; implicit-def: $vgpr30
                                        ; implicit-def: $vgpr18
                                        ; implicit-def: $vgpr26
	s_and_saveexec_b32 s0, vcc_lo
	s_cbranch_execz .LBB0_5
; %bb.4:
	v_add_nc_u32_e32 v4, 0x400, v124
	v_add_nc_u32_e32 v5, 0x800, v124
	;; [unrolled: 1-line block ×3, first 2 shown]
	ds_load_2addr_b64 v[0:3], v124 offset1:96
	v_add_nc_u32_e32 v7, 0x2000, v124
	ds_load_2addr_b64 v[24:27], v4 offset0:64 offset1:160
	ds_load_2addr_b64 v[16:19], v5 offset0:128 offset1:224
	v_add_nc_u32_e32 v4, 0x1800, v124
	v_add_nc_u32_e32 v5, 0x1c00, v124
	;; [unrolled: 1-line block ×3, first 2 shown]
	ds_load_2addr_b64 v[28:31], v6 offset0:64 offset1:160
	ds_load_2addr_b64 v[20:23], v4 offset1:96
	ds_load_2addr_b64 v[12:15], v5 offset0:64 offset1:160
	ds_load_2addr_b64 v[8:11], v7 offset0:128 offset1:224
	ds_load_2addr_b64 v[4:7], v32 offset0:64 offset1:160
	ds_load_b64 v[32:33], v124 offset:12288
.LBB0_5:
	s_wait_alu 0xfffe
	s_or_b32 exec_lo, exec_lo, s0
	s_wait_dscnt 0x0
	v_dual_sub_f32 v83, v3, v33 :: v_dual_sub_f32 v88, v2, v32
	v_add_f32_e32 v48, v32, v2
	v_dual_add_f32 v54, v33, v3 :: v_dual_add_f32 v49, v6, v24
	s_delay_alu instid0(VALU_DEP_3) | instskip(SKIP_3) | instid1(VALU_DEP_4)
	v_dual_mul_f32 v71, 0xbeb8f4ab, v83 :: v_dual_mul_f32 v76, 0xbeb8f4ab, v88
	v_sub_f32_e32 v90, v24, v6
	v_sub_f32_e32 v84, v25, v7
	v_dual_add_f32 v50, v7, v25 :: v_dual_sub_f32 v87, v26, v4
	v_dual_fmamk_f32 v34, v48, 0x3f6eb680, v71 :: v_dual_sub_f32 v85, v27, v5
	v_fma_f32 v35, 0x3f6eb680, v54, -v76
	v_mul_f32_e32 v69, 0xbf2c7751, v90
	v_mul_f32_e32 v67, 0xbf2c7751, v84
	s_delay_alu instid0(VALU_DEP_4) | instskip(NEXT) | instid1(VALU_DEP_4)
	v_dual_add_f32 v34, v34, v0 :: v_dual_add_f32 v51, v4, v26
	v_add_f32_e32 v35, v35, v1
	s_delay_alu instid0(VALU_DEP_4) | instskip(NEXT) | instid1(VALU_DEP_4)
	v_fma_f32 v37, 0x3f3d2fb0, v50, -v69
	v_dual_fmamk_f32 v36, v49, 0x3f3d2fb0, v67 :: v_dual_sub_f32 v91, v16, v10
	v_dual_mul_f32 v66, 0xbf65296c, v85 :: v_dual_add_f32 v55, v5, v27
	v_dual_mul_f32 v68, 0xbf65296c, v87 :: v_dual_add_f32 v57, v11, v17
	s_delay_alu instid0(VALU_DEP_3) | instskip(SKIP_1) | instid1(VALU_DEP_3)
	v_dual_add_f32 v34, v36, v34 :: v_dual_add_f32 v35, v37, v35
	v_dual_sub_f32 v86, v17, v11 :: v_dual_sub_f32 v89, v19, v9
	v_fma_f32 v37, 0x3ee437d1, v55, -v68
	v_dual_mul_f32 v72, 0xbf7ee86f, v91 :: v_dual_sub_f32 v97, v30, v12
	v_fmamk_f32 v36, v51, 0x3ee437d1, v66
	s_delay_alu instid0(VALU_DEP_4) | instskip(SKIP_4) | instid1(VALU_DEP_4)
	v_dual_add_f32 v56, v10, v16 :: v_dual_mul_f32 v73, 0xbf763a35, v89
	v_dual_mul_f32 v70, 0xbf7ee86f, v86 :: v_dual_sub_f32 v93, v18, v8
	v_add_f32_e32 v35, v37, v35
	v_fma_f32 v37, 0x3dbcf732, v57, -v72
	v_dual_add_f32 v34, v36, v34 :: v_dual_add_f32 v59, v9, v19
	v_fmamk_f32 v36, v56, 0x3dbcf732, v70
	v_dual_sub_f32 v96, v28, v14 :: v_dual_add_f32 v63, v13, v31
	s_delay_alu instid0(VALU_DEP_4) | instskip(NEXT) | instid1(VALU_DEP_2)
	v_dual_add_f32 v35, v37, v35 :: v_dual_mul_f32 v74, 0xbf763a35, v93
	v_dual_add_f32 v34, v36, v34 :: v_dual_mul_f32 v77, 0xbf4c4adb, v96
	v_dual_sub_f32 v92, v29, v15 :: v_dual_mul_f32 v79, 0xbf06c442, v97
	v_add_f32_e32 v58, v8, v18
	s_delay_alu instid0(VALU_DEP_4) | instskip(SKIP_1) | instid1(VALU_DEP_4)
	v_fma_f32 v37, 0xbe8c1d8e, v59, -v74
	v_dual_add_f32 v62, v15, v29 :: v_dual_sub_f32 v95, v21, v23
	v_mul_f32_e32 v75, 0xbf4c4adb, v92
	s_delay_alu instid0(VALU_DEP_4) | instskip(NEXT) | instid1(VALU_DEP_4)
	v_dual_fmamk_f32 v36, v58, 0xbe8c1d8e, v73 :: v_dual_add_f32 v61, v12, v30
	v_add_f32_e32 v35, v37, v35
	s_delay_alu instid0(VALU_DEP_4)
	v_fma_f32 v37, 0xbf1a4643, v62, -v77
	v_sub_f32_e32 v98, v20, v22
	v_add_f32_e32 v60, v14, v28
	v_dual_add_f32 v34, v36, v34 :: v_dual_add_f32 v65, v23, v21
	v_dual_sub_f32 v94, v31, v13 :: v_dual_mul_f32 v81, 0xbe3c28d5, v95
	v_add_f32_e32 v35, v37, v35
	v_fma_f32 v37, 0xbf59a7d5, v63, -v79
	v_mul_f32_e32 v82, 0xbe3c28d5, v98
	v_fmamk_f32 v36, v60, 0xbf1a4643, v75
	v_add_f32_e32 v64, v22, v20
	global_wb scope:SCOPE_SE
	v_add_f32_e32 v35, v37, v35
	v_fma_f32 v37, 0xbf7ba420, v65, -v82
	v_mul_f32_e32 v78, 0xbf06c442, v94
	v_add_f32_e32 v34, v36, v34
	s_barrier_signal -1
	s_barrier_wait -1
	v_add_f32_e32 v53, v37, v35
	v_fmamk_f32 v36, v61, 0xbf59a7d5, v78
	global_inv scope:SCOPE_SE
	v_add_f32_e32 v34, v36, v34
	v_fmamk_f32 v36, v64, 0xbf7ba420, v81
	s_delay_alu instid0(VALU_DEP_1)
	v_add_f32_e32 v52, v36, v34
	s_and_saveexec_b32 s0, vcc_lo
	s_cbranch_execz .LBB0_7
; %bb.6:
	v_mul_f32_e32 v113, 0x3ee437d1, v54
	v_mul_f32_e32 v112, 0xbf4c4adb, v84
	;; [unrolled: 1-line block ×6, first 2 shown]
	v_fmamk_f32 v37, v49, 0xbf1a4643, v112
	v_fmamk_f32 v34, v88, 0x3f65296c, v113
	;; [unrolled: 1-line block ×3, first 2 shown]
	s_delay_alu instid0(VALU_DEP_4) | instskip(SKIP_1) | instid1(VALU_DEP_4)
	v_dual_mul_f32 v136, 0xbf7ba420, v50 :: v_dual_fmamk_f32 v39, v49, 0xbf7ba420, v122
	v_mul_f32_e32 v120, 0x3eb8f4ab, v86
	v_dual_add_f32 v34, v34, v1 :: v_dual_mul_f32 v101, 0xbf7ba420, v55
	v_mul_f32_e32 v132, 0x3f6eb680, v57
	v_mul_f32_e32 v105, 0xbeb8f4ab, v92
	;; [unrolled: 1-line block ×3, first 2 shown]
	s_delay_alu instid0(VALU_DEP_4) | instskip(SKIP_4) | instid1(VALU_DEP_3)
	v_add_f32_e32 v34, v36, v34
	v_fmamk_f32 v38, v87, 0xbe3c28d5, v101
	v_mul_f32_e32 v111, 0xbf65296c, v83
	v_mul_f32_e32 v135, 0xbe8c1d8e, v55
	v_dual_mul_f32 v106, 0xbf7ee86f, v94 :: v_dual_mul_f32 v121, 0xbf7ee86f, v83
	v_dual_add_f32 v34, v38, v34 :: v_dual_fmamk_f32 v35, v48, 0x3ee437d1, v111
	v_mul_f32_e32 v104, 0xbe8c1d8e, v57
	v_fmamk_f32 v38, v56, 0xbe8c1d8e, v109
	v_mul_f32_e32 v108, 0x3dbcf732, v63
	v_mul_f32_e32 v129, 0x3f763a35, v85
	v_add_f32_e32 v35, v35, v0
	v_mul_f32_e32 v119, 0xbf65296c, v89
	v_dual_mul_f32 v115, 0x3f2c7751, v95 :: v_dual_mul_f32 v148, 0x3f2c7751, v85
	s_delay_alu instid0(VALU_DEP_3) | instskip(SKIP_1) | instid1(VALU_DEP_3)
	v_dual_mul_f32 v118, 0x3f4c4adb, v94 :: v_dual_add_f32 v35, v37, v35
	v_fmamk_f32 v37, v91, 0xbf763a35, v104
	v_dual_mul_f32 v103, 0x3f3d2fb0, v59 :: v_dual_fmamk_f32 v40, v64, 0x3f3d2fb0, v115
	v_mul_f32_e32 v117, 0xbf06c442, v92
	v_mul_f32_e32 v134, 0xbf59a7d5, v62
	s_delay_alu instid0(VALU_DEP_4)
	v_dual_add_f32 v34, v37, v34 :: v_dual_mul_f32 v107, 0x3e3c28d5, v85
	v_fmamk_f32 v37, v58, 0x3f3d2fb0, v110
	v_mul_f32_e32 v130, 0xbf1a4643, v63
	v_mul_f32_e32 v146, 0x3f06c442, v84
	;; [unrolled: 1-line block ×3, first 2 shown]
	v_fmamk_f32 v36, v51, 0xbf7ba420, v107
	v_dual_mul_f32 v116, 0x3f3d2fb0, v65 :: v_dual_mul_f32 v147, 0x3f3d2fb0, v55
	s_delay_alu instid0(VALU_DEP_4) | instskip(SKIP_1) | instid1(VALU_DEP_4)
	v_fmamk_f32 v41, v49, 0xbf59a7d5, v146
	v_mul_f32_e32 v144, 0xbf763a35, v83
	v_dual_add_f32 v35, v36, v35 :: v_dual_fmamk_f32 v36, v93, 0xbf2c7751, v103
	v_mul_f32_e32 v156, 0x3f763a35, v84
	v_mul_f32_e32 v154, 0xbe3c28d5, v89
	s_delay_alu instid0(VALU_DEP_3) | instskip(NEXT) | instid1(VALU_DEP_3)
	v_dual_mul_f32 v140, 0x3f7ee86f, v92 :: v_dual_add_f32 v35, v38, v35
	v_dual_add_f32 v34, v36, v34 :: v_dual_fmamk_f32 v43, v49, 0xbe8c1d8e, v156
	v_mul_f32_e32 v152, 0xbf65296c, v86
	v_dual_mul_f32 v141, 0xbeb8f4ab, v94 :: v_dual_mul_f32 v158, 0xbeb8f4ab, v85
	s_delay_alu instid0(VALU_DEP_4)
	v_add_f32_e32 v35, v37, v35
	v_fmamk_f32 v37, v60, 0x3f6eb680, v105
	v_fmamk_f32 v36, v96, 0x3eb8f4ab, v114
	v_mul_f32_e32 v145, 0xbf59a7d5, v50
	v_mul_f32_e32 v138, 0x3f6eb680, v63
	;; [unrolled: 1-line block ×3, first 2 shown]
	s_delay_alu instid0(VALU_DEP_4) | instskip(SKIP_2) | instid1(VALU_DEP_4)
	v_dual_add_f32 v35, v37, v35 :: v_dual_add_f32 v34, v36, v34
	v_fmamk_f32 v37, v61, 0x3dbcf732, v106
	v_fmamk_f32 v36, v97, 0x3f7ee86f, v108
	v_dual_fmamk_f32 v42, v64, 0xbf1a4643, v142 :: v_dual_mul_f32 v171, 0xbf1a4643, v57
	s_delay_alu instid0(VALU_DEP_3) | instskip(NEXT) | instid1(VALU_DEP_3)
	v_dual_mul_f32 v172, 0x3f65296c, v84 :: v_dual_add_f32 v37, v37, v35
	v_add_f32_e32 v34, v36, v34
	v_mul_f32_e32 v100, 0xbf06c442, v95
	v_mul_f32_e32 v99, 0xbf59a7d5, v65
	s_delay_alu instid0(VALU_DEP_4)
	v_fmamk_f32 v45, v49, 0x3ee437d1, v172
	v_mul_f32_e32 v139, 0x3dbcf732, v62
	v_mul_f32_e32 v155, 0xbe8c1d8e, v50
	v_fmamk_f32 v38, v64, 0xbf59a7d5, v100
	v_fmamk_f32 v36, v98, 0x3f06c442, v99
	v_mul_f32_e32 v157, 0x3f6eb680, v55
	v_dual_mul_f32 v185, 0xbe8c1d8e, v65 :: v_dual_mul_f32 v196, 0xbe8c1d8e, v63
	v_mul_f32_e32 v193, 0xbf763a35, v95
	s_delay_alu instid0(VALU_DEP_4) | instskip(SKIP_4) | instid1(VALU_DEP_4)
	v_dual_add_f32 v35, v36, v34 :: v_dual_add_f32 v34, v38, v37
	v_fmamk_f32 v37, v48, 0x3dbcf732, v121
	v_fmamk_f32 v38, v90, 0x3e3c28d5, v136
	v_mul_f32_e32 v131, 0x3dbcf732, v54
	v_dual_mul_f32 v159, 0xbf59a7d5, v57 :: v_dual_mul_f32 v46, 0xbf59a7d5, v54
	v_add_f32_e32 v37, v37, v0
	v_fmamk_f32 v198, v97, 0x3f763a35, v196
	v_fmac_f32_e32 v196, 0xbf763a35, v97
	v_fmamk_f32 v195, v64, 0xbe8c1d8e, v193
	v_mul_f32_e32 v181, 0x3f6eb680, v50
	v_add_f32_e32 v37, v39, v37
	v_fmamk_f32 v39, v51, 0xbe8c1d8e, v129
	v_mul_f32_e32 v161, 0x3dbcf732, v59
	s_delay_alu instid0(VALU_DEP_4) | instskip(SKIP_1) | instid1(VALU_DEP_4)
	v_dual_mul_f32 v178, 0xbeb8f4ab, v89 :: v_dual_fmamk_f32 v183, v90, 0xbeb8f4ab, v181
	v_fmac_f32_e32 v181, 0x3eb8f4ab, v90
	v_add_f32_e32 v37, v39, v37
	v_fmamk_f32 v39, v56, 0x3f6eb680, v120
	v_mul_f32_e32 v163, 0x3f3d2fb0, v62
	v_mul_f32_e32 v165, 0xbf7ba420, v63
	;; [unrolled: 1-line block ×4, first 2 shown]
	v_add_f32_e32 v37, v39, v37
	v_fmamk_f32 v39, v58, 0x3ee437d1, v119
	v_fmamk_f32 v36, v88, 0x3f7ee86f, v131
	v_mul_f32_e32 v190, 0x3ee437d1, v62
	v_fmamk_f32 v44, v90, 0xbf65296c, v47
	v_mul_f32_e32 v173, 0x3f6eb680, v59
	v_add_f32_e32 v37, v39, v37
	v_fmamk_f32 v39, v60, 0xbf59a7d5, v117
	v_dual_add_f32 v36, v36, v1 :: v_dual_mul_f32 v175, 0xbf7ba420, v62
	v_dual_mul_f32 v177, 0x3f3d2fb0, v63 :: v_dual_mul_f32 v186, 0x3f3d2fb0, v57
	s_delay_alu instid0(VALU_DEP_3)
	v_add_f32_e32 v37, v39, v37
	v_fmamk_f32 v39, v61, 0xbf1a4643, v118
	v_mul_f32_e32 v160, 0xbf06c442, v86
	v_mul_f32_e32 v179, 0xbf7ba420, v54
	v_mul_f32_e32 v164, 0xbf2c7751, v92
	v_dual_mul_f32 v166, 0xbe3c28d5, v94 :: v_dual_mul_f32 v187, 0xbe3c28d5, v83
	v_dual_add_f32 v39, v39, v37 :: v_dual_add_f32 v36, v38, v36
	v_fmamk_f32 v38, v87, 0xbf763a35, v135
	v_mul_f32_e32 v151, 0xbf4c4adb, v83
	v_mul_f32_e32 v150, 0xbf1a4643, v54
	;; [unrolled: 1-line block ×3, first 2 shown]
	s_delay_alu instid0(VALU_DEP_4)
	v_dual_mul_f32 v167, 0x3ee437d1, v65 :: v_dual_add_f32 v36, v38, v36
	v_fmamk_f32 v38, v91, 0xbeb8f4ab, v132
	v_mul_f32_e32 v170, 0xbf06c442, v83
	v_mul_f32_e32 v174, 0xbf7ee86f, v85
	v_mul_f32_e32 v180, 0xbe3c28d5, v92
	v_fma_f32 v121, 0x3dbcf732, v48, -v121
	v_add_f32_e32 v36, v38, v36
	v_fmamk_f32 v38, v93, 0x3f65296c, v133
	v_fma_f32 v111, 0x3ee437d1, v48, -v111
	s_delay_alu instid0(VALU_DEP_4) | instskip(SKIP_1) | instid1(VALU_DEP_4)
	v_dual_mul_f32 v192, 0xbf06c442, v85 :: v_dual_add_f32 v121, v121, v0
	v_fmac_f32_e32 v104, 0x3f763a35, v91
	v_add_f32_e32 v36, v38, v36
	v_fmamk_f32 v38, v96, 0x3f06c442, v134
	v_fma_f32 v122, 0xbf7ba420, v49, -v122
	v_add_f32_e32 v111, v111, v0
	v_fma_f32 v112, 0xbf1a4643, v49, -v112
	v_mul_f32_e32 v194, 0x3f2c7751, v86
	v_add_f32_e32 v36, v38, v36
	v_dual_fmamk_f32 v38, v97, 0xbf4c4adb, v130 :: v_dual_add_f32 v121, v122, v121
	v_fmac_f32_e32 v114, 0xbeb8f4ab, v96
	v_fma_f32 v122, 0xbe8c1d8e, v51, -v129
	s_delay_alu instid0(VALU_DEP_3) | instskip(SKIP_4) | instid1(VALU_DEP_4)
	v_dual_add_f32 v111, v112, v111 :: v_dual_add_f32 v36, v38, v36
	v_fmamk_f32 v38, v98, 0xbf2c7751, v116
	v_fma_f32 v107, 0xbf7ba420, v51, -v107
	v_fmac_f32_e32 v99, 0xbf06c442, v98
	v_dual_fmac_f32 v131, 0xbf7ee86f, v88 :: v_dual_fmac_f32 v108, 0xbf7ee86f, v97
	v_dual_add_f32 v37, v38, v36 :: v_dual_add_f32 v36, v40, v39
	v_fmamk_f32 v39, v48, 0xbe8c1d8e, v144
	v_add_f32_e32 v121, v122, v121
	v_fmac_f32_e32 v113, 0xbf65296c, v88
	v_fma_f32 v120, 0x3f6eb680, v56, -v120
	v_fma_f32 v109, 0xbe8c1d8e, v56, -v109
	v_add_f32_e32 v39, v39, v0
	v_fma_f32 v105, 0x3f6eb680, v60, -v105
	v_fma_f32 v106, 0x3dbcf732, v61, -v106
	v_dual_add_f32 v131, v131, v1 :: v_dual_mul_f32 v122, 0xbe8c1d8e, v59
	s_delay_alu instid0(VALU_DEP_4)
	v_add_f32_e32 v39, v41, v39
	v_fmamk_f32 v41, v51, 0x3f3d2fb0, v148
	v_fmac_f32_e32 v103, 0x3f2c7751, v93
	v_fmac_f32_e32 v135, 0x3f763a35, v87
	v_fma_f32 v119, 0x3ee437d1, v58, -v119
	v_fma_f32 v117, 0xbf59a7d5, v60, -v117
	v_add_f32_e32 v39, v41, v39
	v_fmamk_f32 v41, v56, 0x3ee437d1, v152
	v_fmac_f32_e32 v133, 0xbf65296c, v93
	v_add_f32_e32 v3, v3, v1
	v_fma_f32 v100, 0xbf59a7d5, v64, -v100
	v_fmac_f32_e32 v132, 0x3eb8f4ab, v91
	v_add_f32_e32 v39, v41, v39
	v_fmamk_f32 v41, v58, 0xbf7ba420, v154
	v_mul_f32_e32 v189, 0x3eb8f4ab, v84
	v_mul_f32_e32 v184, 0xbf59a7d5, v55
	;; [unrolled: 1-line block ×4, first 2 shown]
	v_add_f32_e32 v39, v41, v39
	v_fmamk_f32 v41, v60, 0x3dbcf732, v140
	v_mul_f32_e32 v176, 0x3f4c4adb, v86
	v_fmac_f32_e32 v134, 0xbf06c442, v96
	v_fmac_f32_e32 v136, 0xbe3c28d5, v90
	s_delay_alu instid0(VALU_DEP_4) | instskip(SKIP_1) | instid1(VALU_DEP_3)
	v_dual_fmac_f32 v102, 0xbf4c4adb, v90 :: v_dual_add_f32 v39, v41, v39
	v_fmamk_f32 v41, v61, 0x3f6eb680, v141
	v_dual_fmamk_f32 v40, v90, 0xbf06c442, v145 :: v_dual_add_f32 v131, v136, v131
	v_fma_f32 v141, 0x3f6eb680, v61, -v141
	s_delay_alu instid0(VALU_DEP_3) | instskip(SKIP_3) | instid1(VALU_DEP_4)
	v_dual_add_f32 v2, v2, v0 :: v_dual_add_f32 v41, v41, v39
	v_mul_f32_e32 v143, 0xbe8c1d8e, v54
	v_fmac_f32_e32 v101, 0x3e3c28d5, v87
	v_fmac_f32_e32 v130, 0x3f4c4adb, v97
	v_add_f32_e32 v2, v24, v2
	v_mul_f32_e32 v112, 0xbf7ba420, v65
	v_fmamk_f32 v38, v88, 0x3f763a35, v143
	v_fmac_f32_e32 v116, 0x3f2c7751, v98
	v_mul_f32_e32 v86, 0xbe3c28d5, v86
	v_add_f32_e32 v2, v26, v2
	s_delay_alu instid0(VALU_DEP_4) | instskip(NEXT) | instid1(VALU_DEP_2)
	v_add_f32_e32 v38, v38, v1
	v_add_f32_e32 v2, v16, v2
	s_delay_alu instid0(VALU_DEP_2) | instskip(SKIP_1) | instid1(VALU_DEP_3)
	v_add_f32_e32 v38, v40, v38
	v_fmamk_f32 v40, v87, 0xbf2c7751, v147
	v_add_f32_e32 v2, v18, v2
	s_delay_alu instid0(VALU_DEP_2) | instskip(NEXT) | instid1(VALU_DEP_2)
	v_dual_add_f32 v38, v40, v38 :: v_dual_mul_f32 v149, 0x3ee437d1, v57
	v_add_f32_e32 v2, v28, v2
	s_delay_alu instid0(VALU_DEP_2) | instskip(NEXT) | instid1(VALU_DEP_2)
	v_fmamk_f32 v40, v91, 0x3f65296c, v149
	v_add_f32_e32 v2, v30, v2
	s_delay_alu instid0(VALU_DEP_2) | instskip(NEXT) | instid1(VALU_DEP_2)
	v_dual_add_f32 v38, v40, v38 :: v_dual_mul_f32 v153, 0xbf7ba420, v59
	v_add_f32_e32 v2, v20, v2
	s_delay_alu instid0(VALU_DEP_2) | instskip(NEXT) | instid1(VALU_DEP_1)
	v_fmamk_f32 v40, v93, 0x3e3c28d5, v153
	v_add_f32_e32 v38, v40, v38
	v_fmamk_f32 v40, v96, 0xbf7ee86f, v139
	s_delay_alu instid0(VALU_DEP_1) | instskip(SKIP_3) | instid1(VALU_DEP_3)
	v_add_f32_e32 v38, v40, v38
	v_fmamk_f32 v40, v97, 0x3eb8f4ab, v138
	v_mul_f32_e32 v137, 0xbf1a4643, v65
	v_fmac_f32_e32 v138, 0xbeb8f4ab, v97
	v_add_f32_e32 v38, v40, v38
	s_delay_alu instid0(VALU_DEP_3) | instskip(SKIP_1) | instid1(VALU_DEP_2)
	v_fmamk_f32 v40, v98, 0x3f4c4adb, v137
	v_fmac_f32_e32 v137, 0xbf4c4adb, v98
	v_dual_add_f32 v39, v40, v38 :: v_dual_add_f32 v38, v42, v41
	v_fmamk_f32 v41, v48, 0xbf1a4643, v151
	v_fmamk_f32 v40, v88, 0x3f4c4adb, v150
	;; [unrolled: 1-line block ×3, first 2 shown]
	v_fmac_f32_e32 v143, 0xbf763a35, v88
	v_fma_f32 v144, 0xbe8c1d8e, v48, -v144
	s_delay_alu instid0(VALU_DEP_4) | instskip(SKIP_1) | instid1(VALU_DEP_3)
	v_dual_add_f32 v41, v41, v0 :: v_dual_add_f32 v40, v40, v1
	v_fma_f32 v151, 0xbf1a4643, v48, -v151
	v_dual_add_f32 v143, v143, v1 :: v_dual_add_f32 v144, v144, v0
	s_delay_alu instid0(VALU_DEP_3) | instskip(SKIP_1) | instid1(VALU_DEP_1)
	v_add_f32_e32 v40, v42, v40
	v_fmamk_f32 v42, v87, 0x3eb8f4ab, v157
	v_add_f32_e32 v40, v42, v40
	v_fmamk_f32 v42, v91, 0x3f06c442, v159
	s_delay_alu instid0(VALU_DEP_1) | instskip(SKIP_1) | instid1(VALU_DEP_1)
	v_add_f32_e32 v40, v42, v40
	v_fmamk_f32 v42, v93, 0xbf7ee86f, v161
	v_add_f32_e32 v40, v42, v40
	v_fmamk_f32 v42, v96, 0x3f2c7751, v163
	s_delay_alu instid0(VALU_DEP_1) | instskip(SKIP_1) | instid1(VALU_DEP_1)
	v_add_f32_e32 v40, v42, v40
	v_fmamk_f32 v42, v97, 0x3e3c28d5, v165
	v_dual_fmac_f32 v155, 0x3f763a35, v90 :: v_dual_add_f32 v40, v42, v40
	v_fmamk_f32 v42, v88, 0x3f06c442, v46
	s_delay_alu instid0(VALU_DEP_1) | instskip(SKIP_3) | instid1(VALU_DEP_4)
	v_dual_fmac_f32 v157, 0xbeb8f4ab, v87 :: v_dual_add_f32 v42, v42, v1
	v_add_f32_e32 v41, v43, v41
	v_fmamk_f32 v43, v51, 0x3f6eb680, v158
	v_fma_f32 v158, 0x3f6eb680, v51, -v158
	v_add_f32_e32 v42, v44, v42
	v_fmamk_f32 v44, v87, 0x3f7ee86f, v169
	s_delay_alu instid0(VALU_DEP_4) | instskip(SKIP_1) | instid1(VALU_DEP_3)
	v_add_f32_e32 v41, v43, v41
	v_fmamk_f32 v43, v56, 0xbf59a7d5, v160
	v_add_f32_e32 v42, v44, v42
	v_fmamk_f32 v44, v91, 0xbf4c4adb, v171
	s_delay_alu instid0(VALU_DEP_3) | instskip(SKIP_1) | instid1(VALU_DEP_3)
	v_add_f32_e32 v41, v43, v41
	v_fma_f32 v140, 0x3dbcf732, v60, -v140
	v_add_f32_e32 v42, v44, v42
	v_fmamk_f32 v44, v93, 0x3eb8f4ab, v173
	s_delay_alu instid0(VALU_DEP_1) | instskip(SKIP_1) | instid1(VALU_DEP_1)
	v_add_f32_e32 v42, v44, v42
	v_fmamk_f32 v44, v96, 0x3e3c28d5, v175
	v_add_f32_e32 v42, v44, v42
	v_fmamk_f32 v44, v97, 0xbf2c7751, v177
	v_fmac_f32_e32 v177, 0x3f2c7751, v97
	v_fmac_f32_e32 v150, 0xbf4c4adb, v88
	s_delay_alu instid0(VALU_DEP_3) | instskip(SKIP_2) | instid1(VALU_DEP_4)
	v_add_f32_e32 v42, v44, v42
	v_mul_f32_e32 v162, 0x3f7ee86f, v89
	v_fmamk_f32 v44, v88, 0x3e3c28d5, v179
	v_dual_add_f32 v150, v150, v1 :: v_dual_fmac_f32 v169, 0xbf7ee86f, v87
	s_delay_alu instid0(VALU_DEP_2) | instskip(NEXT) | instid1(VALU_DEP_2)
	v_dual_fmamk_f32 v43, v58, 0x3dbcf732, v162 :: v_dual_add_f32 v44, v44, v1
	v_dual_add_f32 v150, v155, v150 :: v_dual_fmac_f32 v171, 0x3f4c4adb, v91
	s_delay_alu instid0(VALU_DEP_2) | instskip(NEXT) | instid1(VALU_DEP_3)
	v_add_f32_e32 v41, v43, v41
	v_add_f32_e32 v44, v183, v44
	s_delay_alu instid0(VALU_DEP_3) | instskip(SKIP_1) | instid1(VALU_DEP_2)
	v_dual_add_f32 v150, v157, v150 :: v_dual_fmamk_f32 v183, v87, 0x3f06c442, v184
	v_fmac_f32_e32 v47, 0x3f65296c, v90
	v_dual_fmamk_f32 v191, v49, 0x3f6eb680, v189 :: v_dual_add_f32 v44, v183, v44
	v_fmamk_f32 v183, v91, 0xbf2c7751, v186
	v_fmamk_f32 v43, v60, 0x3f3d2fb0, v164
	v_fmac_f32_e32 v175, 0xbe3c28d5, v96
	v_fmac_f32_e32 v46, 0xbf06c442, v88
	s_delay_alu instid0(VALU_DEP_4) | instskip(NEXT) | instid1(VALU_DEP_4)
	v_add_f32_e32 v44, v183, v44
	v_add_f32_e32 v41, v43, v41
	v_fmamk_f32 v43, v61, 0xbf7ba420, v166
	s_delay_alu instid0(VALU_DEP_4) | instskip(NEXT) | instid1(VALU_DEP_2)
	v_dual_fmamk_f32 v183, v93, 0x3f4c4adb, v188 :: v_dual_add_f32 v46, v46, v1
	v_add_f32_e32 v43, v43, v41
	s_delay_alu instid0(VALU_DEP_2) | instskip(NEXT) | instid1(VALU_DEP_3)
	v_dual_fmamk_f32 v41, v98, 0xbf65296c, v167 :: v_dual_add_f32 v44, v183, v44
	v_dual_fmamk_f32 v183, v96, 0xbf65296c, v190 :: v_dual_add_f32 v46, v47, v46
	s_delay_alu instid0(VALU_DEP_2) | instskip(SKIP_1) | instid1(VALU_DEP_3)
	v_dual_fmac_f32 v184, 0xbf06c442, v87 :: v_dual_add_f32 v41, v41, v40
	v_fmamk_f32 v40, v64, 0x3ee437d1, v168
	v_dual_add_f32 v44, v183, v44 :: v_dual_add_f32 v169, v169, v46
	v_fmac_f32_e32 v179, 0xbe3c28d5, v88
	v_mul_f32_e32 v88, 0xbf2c7751, v88
	s_delay_alu instid0(VALU_DEP_4) | instskip(NEXT) | instid1(VALU_DEP_4)
	v_add_f32_e32 v40, v40, v43
	v_dual_fmamk_f32 v43, v48, 0xbf59a7d5, v170 :: v_dual_add_f32 v44, v198, v44
	v_mul_f32_e32 v182, 0x3f2c7751, v94
	v_dual_fmac_f32 v145, 0x3f06c442, v90 :: v_dual_add_f32 v120, v120, v121
	s_delay_alu instid0(VALU_DEP_3) | instskip(SKIP_1) | instid1(VALU_DEP_3)
	v_dual_add_f32 v43, v43, v0 :: v_dual_fmac_f32 v186, 0x3f2c7751, v91
	v_add_f32_e32 v169, v171, v169
	v_add_f32_e32 v143, v145, v143
	v_fma_f32 v145, 0xbf59a7d5, v49, -v146
	s_delay_alu instid0(VALU_DEP_4) | instskip(SKIP_2) | instid1(VALU_DEP_4)
	v_add_f32_e32 v43, v45, v43
	v_fmamk_f32 v45, v51, 0x3dbcf732, v174
	v_fmac_f32_e32 v159, 0xbf06c442, v91
	v_dual_add_f32 v179, v179, v1 :: v_dual_add_f32 v144, v145, v144
	v_fmac_f32_e32 v173, 0xbeb8f4ab, v93
	s_delay_alu instid0(VALU_DEP_3) | instskip(SKIP_2) | instid1(VALU_DEP_4)
	v_dual_add_f32 v43, v45, v43 :: v_dual_add_f32 v150, v159, v150
	v_fmamk_f32 v45, v56, 0xbf1a4643, v176
	v_add_f32_e32 v159, v151, v0
	v_add_f32_e32 v169, v173, v169
	v_fma_f32 v171, 0x3f6eb680, v58, -v178
	v_add_f32_e32 v113, v113, v1
	v_add_f32_e32 v43, v45, v43
	v_fmamk_f32 v45, v58, 0x3f6eb680, v178
	v_add_f32_e32 v155, v175, v169
	s_delay_alu instid0(VALU_DEP_4) | instskip(SKIP_1) | instid1(VALU_DEP_4)
	v_dual_fmac_f32 v147, 0x3f2c7751, v87 :: v_dual_add_f32 v102, v102, v113
	v_mul_f32_e32 v113, 0xbf59a7d5, v61
	v_add_f32_e32 v43, v45, v43
	v_fmamk_f32 v45, v60, 0xbf7ba420, v180
	v_add_f32_e32 v155, v177, v155
	v_add_f32_e32 v101, v101, v102
	v_mul_f32_e32 v87, 0xbf4c4adb, v87
	v_mul_f32_e32 v121, 0xbf1a4643, v62
	v_add_f32_e32 v43, v45, v43
	v_fmamk_f32 v45, v61, 0x3f3d2fb0, v182
	v_fma_f32 v156, 0xbe8c1d8e, v49, -v156
	v_add_f32_e32 v101, v104, v101
	v_dual_add_f32 v119, v119, v120 :: v_dual_mul_f32 v90, 0xbf7ee86f, v90
	s_delay_alu instid0(VALU_DEP_4) | instskip(NEXT) | instid1(VALU_DEP_4)
	v_add_f32_e32 v45, v45, v43
	v_dual_fmamk_f32 v43, v98, 0x3f763a35, v185 :: v_dual_add_f32 v156, v156, v159
	v_add_f32_e32 v179, v181, v179
	v_add_f32_e32 v103, v103, v101
	;; [unrolled: 1-line block ×3, first 2 shown]
	s_delay_alu instid0(VALU_DEP_4) | instskip(NEXT) | instid1(VALU_DEP_4)
	v_dual_add_f32 v43, v43, v42 :: v_dual_fmamk_f32 v42, v48, 0xbf7ba420, v187
	v_add_f32_e32 v179, v184, v179
	v_dual_fmac_f32 v153, 0xbe3c28d5, v93 :: v_dual_add_f32 v104, v117, v119
	v_fma_f32 v117, 0xbf1a4643, v61, -v118
	s_delay_alu instid0(VALU_DEP_4) | instskip(SKIP_2) | instid1(VALU_DEP_4)
	v_dual_add_f32 v42, v42, v0 :: v_dual_fmac_f32 v149, 0xbf65296c, v91
	v_fma_f32 v145, 0x3f3d2fb0, v51, -v148
	v_fma_f32 v147, 0xbf7ba420, v61, -v166
	v_add_f32_e32 v104, v117, v104
	s_delay_alu instid0(VALU_DEP_4) | instskip(SKIP_4) | instid1(VALU_DEP_4)
	v_add_f32_e32 v42, v191, v42
	v_fmamk_f32 v191, v51, 0xbf59a7d5, v192
	v_fmac_f32_e32 v161, 0x3f7ee86f, v93
	v_dual_add_f32 v143, v149, v143 :: v_dual_mul_f32 v102, 0xbf7ba420, v64
	v_mul_f32_e32 v129, 0x3dbcf732, v57
	v_add_f32_e32 v183, v191, v42
	v_dual_fmamk_f32 v191, v56, 0x3f3d2fb0, v194 :: v_dual_add_f32 v42, v195, v45
	v_mul_f32_e32 v195, 0xbf763a35, v94
	v_dual_mul_f32 v94, 0x3f65296c, v94 :: v_dual_add_f32 v107, v107, v111
	s_delay_alu instid0(VALU_DEP_3) | instskip(SKIP_2) | instid1(VALU_DEP_4)
	v_add_f32_e32 v45, v191, v183
	v_fmamk_f32 v183, v58, 0xbf1a4643, v197
	v_mul_f32_e32 v191, 0x3f65296c, v92
	v_dual_add_f32 v156, v158, v156 :: v_dual_add_f32 v107, v109, v107
	v_fma_f32 v109, 0x3f3d2fb0, v58, -v110
	s_delay_alu instid0(VALU_DEP_4) | instskip(SKIP_2) | instid1(VALU_DEP_4)
	v_add_f32_e32 v45, v183, v45
	v_fma_f32 v183, 0xbf7ba420, v48, -v187
	v_fmamk_f32 v187, v60, 0x3ee437d1, v191
	v_dual_fmac_f32 v190, 0x3f65296c, v96 :: v_dual_add_f32 v107, v109, v107
	v_mul_f32_e32 v109, 0xbf7ee86f, v84
	s_delay_alu instid0(VALU_DEP_4)
	v_add_f32_e32 v181, v183, v0
	v_fma_f32 v183, 0x3f6eb680, v49, -v189
	v_add_f32_e32 v45, v187, v45
	v_add_f32_e32 v105, v105, v107
	v_mul_f32_e32 v107, 0xbf2c7751, v83
	v_fmamk_f32 v187, v61, 0xbe8c1d8e, v195
	v_add_f32_e32 v181, v183, v181
	v_fma_f32 v170, 0xbf59a7d5, v48, -v170
	v_add_f32_e32 v105, v106, v105
	v_fma_f32 v106, 0x3f3d2fb0, v48, -v107
	v_fmac_f32_e32 v167, 0x3f65296c, v98
	v_fma_f32 v183, 0xbf59a7d5, v51, -v192
	v_dual_add_f32 v184, v187, v45 :: v_dual_add_f32 v45, v186, v179
	s_delay_alu instid0(VALU_DEP_4) | instskip(SKIP_3) | instid1(VALU_DEP_4)
	v_dual_add_f32 v106, v106, v0 :: v_dual_fmac_f32 v185, 0xbf763a35, v98
	v_mul_f32_e32 v186, 0x3f7ee86f, v95
	v_dual_mul_f32 v187, 0x3dbcf732, v65 :: v_dual_add_f32 v170, v170, v0
	v_fma_f32 v172, 0x3ee437d1, v49, -v172
	v_add_f32_e32 v151, v185, v155
	v_add_f32_e32 v179, v183, v181
	s_delay_alu instid0(VALU_DEP_4)
	v_fmamk_f32 v183, v98, 0xbf7ee86f, v187
	v_fma_f32 v181, 0x3f3d2fb0, v56, -v194
	v_add_f32_e32 v170, v172, v170
	v_fma_f32 v172, 0x3dbcf732, v51, -v174
	v_dual_fmamk_f32 v84, v55, 0xbf1a4643, v87 :: v_dual_add_f32 v103, v114, v103
	v_add_f32_e32 v18, v77, v121
	s_delay_alu instid0(VALU_DEP_3) | instskip(SKIP_4) | instid1(VALU_DEP_3)
	v_dual_add_f32 v179, v181, v179 :: v_dual_add_f32 v170, v172, v170
	v_fma_f32 v172, 0xbf1a4643, v56, -v176
	v_fma_f32 v181, 0xbf1a4643, v58, -v197
	v_dual_add_f32 v103, v108, v103 :: v_dual_fmamk_f32 v108, v54, 0x3f3d2fb0, v88
	v_add_f32_e32 v155, v161, v150
	v_dual_add_f32 v170, v172, v170 :: v_dual_add_f32 v179, v181, v179
	s_delay_alu instid0(VALU_DEP_3) | instskip(SKIP_1) | instid1(VALU_DEP_3)
	v_dual_add_f32 v144, v145, v144 :: v_dual_add_f32 v83, v108, v1
	v_fmamk_f32 v108, v50, 0x3dbcf732, v90
	v_add_f32_e32 v170, v171, v170
	v_fma_f32 v171, 0xbf7ba420, v60, -v180
	v_dual_fmac_f32 v188, 0xbf4c4adb, v93 :: v_dual_add_f32 v143, v153, v143
	s_delay_alu instid0(VALU_DEP_4) | instskip(SKIP_1) | instid1(VALU_DEP_3)
	v_add_f32_e32 v83, v108, v83
	v_fma_f32 v108, 0x3dbcf732, v49, -v109
	v_dual_add_f32 v169, v171, v170 :: v_dual_add_f32 v188, v188, v45
	v_add_f32_e32 v45, v183, v44
	v_fma_f32 v170, 0x3f3d2fb0, v61, -v182
	s_delay_alu instid0(VALU_DEP_4) | instskip(SKIP_2) | instid1(VALU_DEP_4)
	v_dual_fmac_f32 v139, 0x3f7ee86f, v96 :: v_dual_add_f32 v106, v108, v106
	v_mul_f32_e32 v91, 0xbe3c28d5, v91
	v_add_f32_e32 v83, v84, v83
	v_add_f32_e32 v157, v170, v169
	v_fma_f32 v169, 0xbe8c1d8e, v64, -v193
	v_add_f32_e32 v139, v139, v143
	v_fmac_f32_e32 v163, 0xbf2c7751, v96
	v_dual_mul_f32 v96, 0x3f763a35, v96 :: v_dual_add_f32 v131, v135, v131
	v_fmamk_f32 v84, v57, 0xbf7ba420, v91
	v_add_f32_e32 v150, v169, v157
	v_fma_f32 v157, 0xbf59a7d5, v56, -v160
	v_mul_f32_e32 v93, 0x3f06c442, v93
	v_add_f32_e32 v131, v132, v131
	v_fma_f32 v145, 0x3ee437d1, v56, -v152
	s_delay_alu instid0(VALU_DEP_4) | instskip(SKIP_1) | instid1(VALU_DEP_4)
	v_dual_add_f32 v83, v84, v83 :: v_dual_add_f32 v156, v157, v156
	v_fma_f32 v157, 0x3dbcf732, v58, -v162
	v_dual_fmamk_f32 v84, v59, 0xbf59a7d5, v93 :: v_dual_add_f32 v131, v133, v131
	s_delay_alu instid0(VALU_DEP_4) | instskip(NEXT) | instid1(VALU_DEP_3)
	v_dual_add_f32 v145, v145, v144 :: v_dual_mul_f32 v132, 0x3ee437d1, v51
	v_add_f32_e32 v146, v157, v156
	v_fma_f32 v156, 0x3f3d2fb0, v60, -v164
	s_delay_alu instid0(VALU_DEP_4) | instskip(SKIP_1) | instid1(VALU_DEP_3)
	v_dual_add_f32 v83, v84, v83 :: v_dual_fmamk_f32 v84, v62, 0xbe8c1d8e, v96
	v_dual_add_f32 v131, v134, v131 :: v_dual_mul_f32 v92, 0x3f763a35, v92
	v_dual_add_f32 v146, v156, v146 :: v_dual_fmac_f32 v165, 0xbe3c28d5, v97
	v_dual_mul_f32 v97, 0x3f65296c, v97 :: v_dual_add_f32 v138, v138, v139
	s_delay_alu instid0(VALU_DEP_2) | instskip(SKIP_1) | instid1(VALU_DEP_3)
	v_dual_add_f32 v83, v84, v83 :: v_dual_add_f32 v146, v147, v146
	v_fma_f32 v147, 0xbf7ba420, v58, -v154
	v_fmamk_f32 v84, v63, 0x3ee437d1, v97
	v_fmamk_f32 v44, v64, 0x3dbcf732, v186
	v_fmac_f32_e32 v187, 0x3f7ee86f, v98
	s_delay_alu instid0(VALU_DEP_4) | instskip(NEXT) | instid1(VALU_DEP_4)
	v_dual_mul_f32 v98, 0x3eb8f4ab, v98 :: v_dual_add_f32 v145, v147, v145
	v_add_f32_e32 v111, v84, v83
	v_add_f32_e32 v84, v99, v103
	;; [unrolled: 1-line block ×3, first 2 shown]
	v_mul_f32_e32 v138, 0x3ee437d1, v55
	v_dual_add_f32 v140, v140, v145 :: v_dual_add_f32 v155, v163, v155
	v_fma_f32 v110, 0x3f3d2fb0, v64, -v115
	v_fmamk_f32 v114, v65, 0x3f6eb680, v98
	s_delay_alu instid0(VALU_DEP_3) | instskip(SKIP_4) | instid1(VALU_DEP_4)
	v_dual_mul_f32 v137, 0x3f3d2fb0, v50 :: v_dual_add_f32 v140, v141, v140
	v_mul_f32_e32 v141, 0x3f6eb680, v54
	v_add_f32_e32 v3, v25, v3
	v_dual_add_f32 v130, v130, v131 :: v_dual_mul_f32 v131, 0xbf1a4643, v60
	v_add_f32_e32 v68, v68, v138
	v_dual_add_f32 v99, v76, v141 :: v_dual_add_f32 v76, v114, v111
	v_add_f32_e32 v69, v69, v137
	v_add_f32_e32 v3, v27, v3
	v_fma_f32 v148, 0x3ee437d1, v64, -v168
	s_delay_alu instid0(VALU_DEP_4) | instskip(SKIP_1) | instid1(VALU_DEP_4)
	v_dual_add_f32 v99, v99, v1 :: v_dual_mul_f32 v120, 0xbf59a7d5, v63
	v_fma_f32 v142, 0xbf1a4643, v64, -v142
	v_add_f32_e32 v3, v17, v3
	s_delay_alu instid0(VALU_DEP_4) | instskip(NEXT) | instid1(VALU_DEP_4)
	v_add_f32_e32 v143, v148, v146
	v_add_f32_e32 v25, v69, v99
	v_dual_add_f32 v155, v165, v155 :: v_dual_mul_f32 v134, 0xbe8c1d8e, v58
	s_delay_alu instid0(VALU_DEP_4) | instskip(NEXT) | instid1(VALU_DEP_3)
	v_add_f32_e32 v3, v19, v3
	v_dual_add_f32 v19, v74, v122 :: v_dual_add_f32 v24, v68, v25
	v_add_f32_e32 v25, v72, v129
	v_add_f32_e32 v135, v142, v140
	s_delay_alu instid0(VALU_DEP_4)
	v_add_f32_e32 v3, v29, v3
	v_fma_f32 v181, 0x3ee437d1, v60, -v191
	v_add_f32_e32 v183, v190, v188
	v_add_f32_e32 v24, v25, v24
	v_fma_f32 v174, 0x3dbcf732, v64, -v186
	v_add_f32_e32 v3, v31, v3
	;; [unrolled: 3-line block ×3, first 2 shown]
	v_add_f32_e32 v183, v196, v183
	v_add_f32_e32 v3, v21, v3
	;; [unrolled: 1-line block ×4, first 2 shown]
	v_dual_add_f32 v18, v18, v19 :: v_dual_add_f32 v19, v79, v120
	s_delay_alu instid0(VALU_DEP_4) | instskip(SKIP_1) | instid1(VALU_DEP_4)
	v_dual_add_f32 v3, v23, v3 :: v_dual_add_f32 v44, v44, v184
	v_add_f32_e32 v47, v187, v183
	v_add_f32_e32 v46, v174, v179
	s_delay_alu instid0(VALU_DEP_4) | instskip(NEXT) | instid1(VALU_DEP_4)
	v_dual_add_f32 v18, v19, v18 :: v_dual_add_f32 v19, v82, v112
	v_add_f32_e32 v13, v13, v3
	s_delay_alu instid0(VALU_DEP_2) | instskip(SKIP_2) | instid1(VALU_DEP_4)
	v_add_f32_e32 v3, v19, v18
	v_dual_add_f32 v18, v22, v2 :: v_dual_mul_f32 v85, 0xbf4c4adb, v85
	v_fma_f32 v19, 0x3f3d2fb0, v54, -v88
	v_add_f32_e32 v13, v15, v13
	v_fma_f32 v15, 0x3dbcf732, v50, -v90
	s_delay_alu instid0(VALU_DEP_4) | instskip(SKIP_3) | instid1(VALU_DEP_4)
	v_add_f32_e32 v12, v12, v18
	v_fma_f32 v108, 0xbf1a4643, v51, -v85
	v_mul_f32_e32 v139, 0x3f6eb680, v48
	v_add_f32_e32 v1, v19, v1
	v_dual_fmac_f32 v109, 0x3dbcf732, v49 :: v_dual_add_f32 v12, v14, v12
	s_delay_alu instid0(VALU_DEP_4) | instskip(SKIP_1) | instid1(VALU_DEP_3)
	v_dual_add_f32 v106, v108, v106 :: v_dual_mul_f32 v89, 0x3f06c442, v89
	v_fma_f32 v108, 0xbf7ba420, v56, -v86
	v_dual_mul_f32 v145, 0x3f3d2fb0, v49 :: v_dual_add_f32 v8, v8, v12
	v_add_f32_e32 v9, v9, v13
	s_delay_alu instid0(VALU_DEP_3) | instskip(SKIP_1) | instid1(VALU_DEP_4)
	v_dual_add_f32 v1, v15, v1 :: v_dual_add_f32 v106, v108, v106
	v_fma_f32 v108, 0xbf59a7d5, v58, -v89
	v_dual_add_f32 v8, v10, v8 :: v_dual_mul_f32 v95, 0x3eb8f4ab, v95
	v_sub_f32_e32 v67, v145, v67
	v_fma_f32 v13, 0xbf1a4643, v55, -v87
	s_delay_alu instid0(VALU_DEP_4) | instskip(NEXT) | instid1(VALU_DEP_4)
	v_add_f32_e32 v106, v108, v106
	v_dual_add_f32 v4, v4, v8 :: v_dual_sub_f32 v71, v139, v71
	v_fma_f32 v108, 0xbe8c1d8e, v60, -v92
	v_mul_f32_e32 v133, 0x3dbcf732, v56
	v_fma_f32 v103, 0x3f6eb680, v64, -v95
	s_delay_alu instid0(VALU_DEP_4) | instskip(NEXT) | instid1(VALU_DEP_4)
	v_add_f32_e32 v4, v6, v4
	v_dual_add_f32 v71, v71, v0 :: v_dual_add_f32 v106, v108, v106
	v_fma_f32 v108, 0x3ee437d1, v61, -v94
	v_fmac_f32_e32 v94, 0x3ee437d1, v61
	v_fmac_f32_e32 v95, 0x3f6eb680, v64
	s_delay_alu instid0(VALU_DEP_4) | instskip(SKIP_4) | instid1(VALU_DEP_4)
	v_add_f32_e32 v67, v67, v71
	v_sub_f32_e32 v27, v132, v66
	v_dual_sub_f32 v26, v133, v70 :: v_dual_fmac_f32 v85, 0xbf1a4643, v51
	v_add_f32_e32 v9, v11, v9
	v_add_f32_e32 v1, v13, v1
	v_add_f32_e32 v17, v27, v67
	v_dual_add_f32 v101, v116, v130 :: v_dual_fmac_f32 v86, 0xbf7ba420, v56
	s_delay_alu instid0(VALU_DEP_4) | instskip(SKIP_1) | instid1(VALU_DEP_4)
	v_add_f32_e32 v5, v5, v9
	v_fma_f32 v9, 0xbf59a7d5, v59, -v93
	v_add_f32_e32 v16, v26, v17
	v_sub_f32_e32 v17, v134, v73
	v_fmac_f32_e32 v89, 0xbf59a7d5, v58
	v_add_f32_e32 v5, v7, v5
	v_fma_f32 v8, 0xbe8c1d8e, v62, -v96
	v_fmac_f32_e32 v92, 0xbe8c1d8e, v60
	v_dual_add_f32 v16, v17, v16 :: v_dual_sub_f32 v17, v131, v75
	v_mul_lo_u16 v6, v128, 17
	s_delay_alu instid0(VALU_DEP_2) | instskip(SKIP_1) | instid1(VALU_DEP_1)
	v_add_f32_e32 v16, v17, v16
	v_fmac_f32_e32 v107, 0x3f3d2fb0, v48
	v_dual_sub_f32 v17, v113, v78 :: v_dual_add_f32 v0, v107, v0
	s_delay_alu instid0(VALU_DEP_1) | instskip(NEXT) | instid1(VALU_DEP_2)
	v_dual_add_f32 v16, v17, v16 :: v_dual_sub_f32 v17, v102, v81
	v_add_f32_e32 v0, v109, v0
	s_delay_alu instid0(VALU_DEP_2) | instskip(SKIP_1) | instid1(VALU_DEP_1)
	v_add_f32_e32 v2, v17, v16
	v_fma_f32 v11, 0xbf7ba420, v57, -v91
	v_dual_add_f32 v0, v85, v0 :: v_dual_add_f32 v1, v11, v1
	s_delay_alu instid0(VALU_DEP_1) | instskip(NEXT) | instid1(VALU_DEP_2)
	v_dual_add_f32 v0, v86, v0 :: v_dual_add_f32 v83, v100, v105
	v_dual_add_f32 v100, v108, v106 :: v_dual_add_f32 v7, v9, v1
	v_add_f32_e32 v1, v33, v5
	s_delay_alu instid0(VALU_DEP_3) | instskip(NEXT) | instid1(VALU_DEP_3)
	v_add_f32_e32 v0, v89, v0
	v_add_f32_e32 v75, v103, v100
	s_delay_alu instid0(VALU_DEP_4) | instskip(SKIP_1) | instid1(VALU_DEP_4)
	v_add_f32_e32 v5, v8, v7
	v_fma_f32 v7, 0x3ee437d1, v63, -v97
	v_add_f32_e32 v8, v92, v0
	v_add_f32_e32 v0, v32, v4
	v_and_b32_e32 v4, 0xffff, v6
	v_fma_f32 v6, 0x3f6eb680, v65, -v98
	v_add_f32_e32 v5, v7, v5
	v_add_f32_e32 v7, v94, v8
	;; [unrolled: 1-line block ×3, first 2 shown]
	s_delay_alu instid0(VALU_DEP_3) | instskip(NEXT) | instid1(VALU_DEP_3)
	v_dual_add_f32 v5, v6, v5 :: v_dual_lshlrev_b32 v8, 3, v4
	v_add_f32_e32 v4, v95, v7
	ds_store_2addr_b64 v8, v[0:1], v[2:3] offset1:1
	ds_store_2addr_b64 v8, v[75:76], v[83:84] offset0:2 offset1:3
	ds_store_2addr_b64 v8, v[100:101], v[135:136] offset0:4 offset1:5
	ds_store_2addr_b64 v8, v[143:144], v[150:151] offset0:6 offset1:7
	ds_store_2addr_b64 v8, v[46:47], v[44:45] offset0:8 offset1:9
	ds_store_2addr_b64 v8, v[42:43], v[40:41] offset0:10 offset1:11
	ds_store_2addr_b64 v8, v[38:39], v[36:37] offset0:12 offset1:13
	ds_store_2addr_b64 v8, v[34:35], v[4:5] offset0:14 offset1:15
	ds_store_b64 v8, v[52:53] offset:128
.LBB0_7:
	s_wait_alu 0xfffe
	s_or_b32 exec_lo, exec_lo, s0
	v_and_b32_e32 v0, 0xff, v128
	v_add_co_u32 v2, null, 0xcc, v128
	v_add_nc_u16 v1, v128, 0x66
	s_load_b128 s[4:7], s[4:5], 0x0
	s_delay_alu instid0(VALU_DEP_3) | instskip(NEXT) | instid1(VALU_DEP_3)
	v_mul_lo_u16 v18, 0xf1, v0
	v_and_b32_e32 v0, 0xffff, v2
	global_wb scope:SCOPE_SE
	s_wait_dscnt 0x0
	s_wait_kmcnt 0x0
	s_barrier_signal -1
	s_barrier_wait -1
	v_lshrrev_b16 v46, 12, v18
	v_mul_u32_u24_e32 v6, 0xf0f1, v0
	global_inv scope:SCOPE_SE
	v_add_co_u32 v4, null, 0x132, v128
	v_mul_lo_u16 v3, v46, 17
	v_lshrrev_b32_e32 v49, 20, v6
	v_add_co_u32 v0, null, 0x198, v128
	v_add_co_u32 v50, null, 0x264, v128
	s_delay_alu instid0(VALU_DEP_3) | instskip(SKIP_2) | instid1(VALU_DEP_4)
	v_mul_lo_u16 v8, v49, 17
	v_sub_nc_u16 v3, v128, v3
	v_add_co_u32 v54, null, 0x2ca, v128
	v_and_b32_e32 v13, 0xffff, v50
	s_delay_alu instid0(VALU_DEP_4) | instskip(NEXT) | instid1(VALU_DEP_4)
	v_sub_nc_u16 v55, v2, v8
	v_and_b32_e32 v51, 0xff, v3
	v_and_b32_e32 v8, 0xffff, v0
	;; [unrolled: 1-line block ×3, first 2 shown]
	v_mul_u32_u24_e32 v59, 0xf0f1, v13
	v_and_b32_e32 v11, 0xffff, v55
	v_lshlrev_b32_e32 v10, 3, v51
	v_lshrrev_b16 v72, 13, v18
	v_mul_u32_u24_e32 v60, 0xf0f1, v14
	v_lshrrev_b32_e32 v63, 20, v59
	v_lshlrev_b32_e32 v11, 3, v11
	global_load_b64 v[91:92], v10, s[2:3]
	v_lshrrev_b32_e32 v74, 21, v6
	v_lshrrev_b32_e32 v65, 20, v60
	v_mul_lo_u16 v46, v46, 34
	global_load_b64 v[95:96], v11, s[2:3]
	v_and_b32_e32 v5, 0xff, v1
	v_mul_lo_u16 v79, v74, 34
	v_mul_lo_u16 v17, v65, 17
	v_and_b32_e32 v46, 0xfe, v46
	v_lshrrev_b32_e32 v59, 21, v59
	v_mul_lo_u16 v47, 0xf1, v5
	v_sub_nc_u16 v79, v2, v79
	v_sub_nc_u16 v68, v54, v17
	v_add_lshl_u32 v135, v46, v51, 3
	v_mad_u16 v46, v49, 34, v55
	v_lshrrev_b16 v48, 12, v47
	v_lshrrev_b16 v47, 13, v47
	v_mul_lo_u16 v100, v59, 34
	v_lshrrev_b32_e32 v60, 21, v60
	v_and_b32_e32 v46, 0xffff, v46
	v_mul_lo_u16 v7, v48, 17
	v_and_b32_e32 v48, 0xffff, v48
	v_mul_lo_u16 v78, v47, 34
	v_mul_lo_u16 v73, v72, 34
	v_lshlrev_b32_e32 v141, 3, v46
	v_sub_nc_u16 v3, v1, v7
	v_and_b32_e32 v7, 0xffff, v4
	v_mul_u32_u24_e32 v48, 34, v48
	v_sub_nc_u16 v78, v1, v78
	v_mul_lo_u16 v101, v60, 34
	v_and_b32_e32 v56, 0xff, v3
	v_add_nc_u16 v3, v128, 0x1fe
	v_mul_u32_u24_e32 v9, 0xf0f1, v7
	v_mul_u32_u24_e32 v7, 0xf0f1, v8
	v_sub_nc_u16 v73, v128, v73
	v_lshlrev_b32_e32 v12, 3, v56
	v_and_b32_e32 v8, 0xffff, v3
	v_lshrrev_b32_e32 v57, 20, v9
	v_lshrrev_b32_e32 v58, 20, v7
	;; [unrolled: 1-line block ×3, first 2 shown]
	global_load_b64 v[93:94], v12, s[2:3]
	v_mul_u32_u24_e32 v8, 0xf0f1, v8
	v_mul_lo_u16 v15, v57, 17
	v_mul_lo_u16 v13, v58, 17
	v_lshrrev_b32_e32 v75, 21, v9
	v_mul_lo_u16 v98, v76, 34
	v_lshrrev_b32_e32 v61, 20, v8
	v_sub_nc_u16 v62, v4, v15
	v_sub_nc_u16 v64, v0, v13
	v_mul_lo_u16 v15, v63, 17
	v_lshrrev_b32_e32 v77, 21, v8
	v_mul_lo_u16 v13, v61, 17
	v_mul_lo_u16 v97, v75, 34
	v_and_b32_e32 v16, 0xffff, v64
	v_sub_nc_u16 v67, v50, v15
	v_mul_lo_u16 v99, v77, 34
	v_sub_nc_u16 v66, v3, v13
	v_sub_nc_u16 v114, v0, v98
	v_lshlrev_b32_e32 v13, 3, v16
	v_and_b32_e32 v15, 0xffff, v67
	v_mad_u16 v49, v57, 34, v62
	v_mad_u16 v51, v58, 34, v64
	v_mad_u16 v57, v63, 34, v67
	global_load_b64 v[87:88], v13, s[2:3]
	v_and_b32_e32 v14, 0xffff, v62
	v_mad_u16 v58, v65, 34, v68
	v_sub_nc_u16 v113, v4, v97
	v_sub_nc_u16 v115, v3, v99
	v_mad_u16 v55, v61, 34, v66
	v_lshlrev_b32_e32 v10, 3, v14
	v_and_b32_e32 v14, 0xffff, v66
	v_add_lshl_u32 v138, v48, v56, 3
	v_and_b32_e32 v56, 0xffff, v58
	v_and_b32_e32 v48, 0xffff, v49
	global_load_b64 v[89:90], v10, s[2:3]
	v_and_b32_e32 v12, 0xffff, v68
	v_lshlrev_b32_e32 v11, 3, v14
	v_lshlrev_b32_e32 v10, 3, v15
	v_sub_nc_u16 v50, v50, v100
	v_and_b32_e32 v62, 0xff, v78
	v_lshlrev_b32_e32 v12, 3, v12
	s_clause 0x2
	global_load_b64 v[85:86], v11, s[2:3]
	global_load_b64 v[83:84], v10, s[2:3]
	;; [unrolled: 1-line block ×3, first 2 shown]
	v_and_b32_e32 v10, 0xffff, v128
	v_lshlrev_b32_e32 v80, 3, v48
	v_lshlrev_b32_e32 v136, 3, v56
	v_sub_nc_u16 v54, v54, v101
	v_and_b32_e32 v66, 0xffff, v115
	v_lshlrev_b32_e32 v129, 3, v10
	v_cmp_gt_u16_e64 s0, 34, v128
	s_delay_alu instid0(VALU_DEP_2)
	v_add_nc_u32_e32 v10, 0x1800, v129
	v_add_nc_u32_e32 v11, 0x400, v129
	;; [unrolled: 1-line block ×4, first 2 shown]
	ds_load_2addr_b64 v[14:17], v129 offset1:102
	v_add_nc_u32_e32 v71, 0x2400, v129
	v_add_nc_u32_e32 v13, 0x1000, v129
	;; [unrolled: 1-line block ×3, first 2 shown]
	ds_load_2addr_b64 v[18:21], v10 offset0:48 offset1:150
	ds_load_2addr_b64 v[22:25], v11 offset0:76 offset1:178
	;; [unrolled: 1-line block ×7, first 2 shown]
	global_wb scope:SCOPE_SE
	s_wait_loadcnt_dscnt 0x0
	s_barrier_signal -1
	s_barrier_wait -1
	global_inv scope:SCOPE_SE
	v_mul_f32_e32 v46, v19, v92
	v_mul_f32_e32 v48, v18, v92
	s_delay_alu instid0(VALU_DEP_2) | instskip(NEXT) | instid1(VALU_DEP_2)
	v_fma_f32 v18, v18, v91, -v46
	v_fmac_f32_e32 v48, v19, v91
	s_delay_alu instid0(VALU_DEP_2) | instskip(NEXT) | instid1(VALU_DEP_1)
	v_sub_f32_e32 v18, v14, v18
	v_fma_f32 v14, v14, 2.0, -v18
	v_mul_f32_e32 v19, v21, v94
	v_mul_f32_e32 v46, v20, v94
	s_delay_alu instid0(VALU_DEP_2) | instskip(NEXT) | instid1(VALU_DEP_2)
	v_fma_f32 v20, v20, v93, -v19
	v_fmac_f32_e32 v46, v21, v93
	v_and_b32_e32 v73, 0xff, v73
	v_sub_f32_e32 v19, v15, v48
	s_delay_alu instid0(VALU_DEP_3) | instskip(NEXT) | instid1(VALU_DEP_2)
	v_dual_sub_f32 v20, v16, v20 :: v_dual_sub_f32 v21, v17, v46
	v_fma_f32 v15, v15, 2.0, -v19
	s_delay_alu instid0(VALU_DEP_2) | instskip(NEXT) | instid1(VALU_DEP_3)
	v_fma_f32 v16, v16, 2.0, -v20
	v_fma_f32 v17, v17, 2.0, -v21
	v_mul_f32_e32 v78, v34, v88
	s_delay_alu instid0(VALU_DEP_1) | instskip(SKIP_1) | instid1(VALU_DEP_1)
	v_fmac_f32_e32 v78, v35, v87
	v_mul_f32_e32 v56, v28, v90
	v_fmac_f32_e32 v56, v29, v89
	v_dual_mul_f32 v98, v36, v86 :: v_dual_and_b32 v63, 0xffff, v79
	v_mul_f32_e32 v97, v37, v86
	v_mul_f32_e32 v99, v43, v84
	;; [unrolled: 1-line block ×3, first 2 shown]
	s_delay_alu instid0(VALU_DEP_4)
	v_fmac_f32_e32 v98, v37, v85
	v_dual_mul_f32 v63, v35, v88 :: v_dual_lshlrev_b32 v58, 3, v63
	v_fma_f32 v36, v36, v85, -v97
	v_fma_f32 v42, v42, v83, -v99
	v_mul_f32_e32 v101, v45, v82
	v_mul_f32_e32 v102, v44, v82
	v_fma_f32 v34, v34, v87, -v63
	v_and_b32_e32 v49, 0xffff, v51
	v_dual_sub_f32 v36, v32, v36 :: v_dual_and_b32 v51, 0xffff, v55
	v_dual_sub_f32 v42, v38, v42 :: v_dual_and_b32 v55, 0xffff, v57
	s_delay_alu instid0(VALU_DEP_3) | instskip(NEXT) | instid1(VALU_DEP_3)
	v_dual_sub_f32 v34, v30, v34 :: v_dual_lshlrev_b32 v139, 3, v49
	v_lshlrev_b32_e32 v137, 3, v51
	s_delay_alu instid0(VALU_DEP_3) | instskip(SKIP_3) | instid1(VALU_DEP_4)
	v_dual_mul_f32 v55, v29, v90 :: v_dual_lshlrev_b32 v140, 3, v55
	v_mul_f32_e32 v49, v27, v96
	v_dual_mul_f32 v51, v26, v96 :: v_dual_fmac_f32 v100, v43, v83
	v_dual_fmac_f32 v102, v45, v81 :: v_dual_and_b32 v65, 0xffff, v114
	v_fma_f32 v28, v28, v89, -v55
	s_delay_alu instid0(VALU_DEP_4) | instskip(NEXT) | instid1(VALU_DEP_4)
	v_fma_f32 v26, v26, v95, -v49
	v_fmac_f32_e32 v51, v27, v95
	v_fma_f32 v44, v44, v81, -v101
	s_delay_alu instid0(VALU_DEP_4)
	v_dual_sub_f32 v28, v24, v28 :: v_dual_and_b32 v67, 0xffff, v50
	v_sub_f32_e32 v29, v25, v56
	v_sub_f32_e32 v35, v31, v78
	v_dual_sub_f32 v26, v22, v26 :: v_dual_lshlrev_b32 v61, 3, v73
	v_sub_f32_e32 v27, v23, v51
	v_sub_f32_e32 v37, v33, v98
	v_sub_f32_e32 v43, v39, v100
	v_dual_sub_f32 v44, v40, v44 :: v_dual_lshlrev_b32 v57, 3, v62
	v_sub_f32_e32 v45, v41, v102
	v_fma_f32 v24, v24, 2.0, -v28
	v_fma_f32 v25, v25, 2.0, -v29
	;; [unrolled: 1-line block ×12, first 2 shown]
	ds_store_2addr_b64 v135, v[14:15], v[18:19] offset1:17
	ds_store_2addr_b64 v138, v[16:17], v[20:21] offset1:17
	;; [unrolled: 1-line block ×3, first 2 shown]
	scratch_store_b32 off, v80, off         ; 4-byte Folded Spill
	ds_store_2addr_b64 v80, v[24:25], v[28:29] offset1:17
	ds_store_2addr_b64 v139, v[30:31], v[34:35] offset1:17
	;; [unrolled: 1-line block ×5, first 2 shown]
	global_wb scope:SCOPE_SE
	s_wait_storecnt_dscnt 0x0
	s_barrier_signal -1
	s_barrier_wait -1
	global_inv scope:SCOPE_SE
	s_clause 0x1
	global_load_b64 v[107:108], v57, s[2:3] offset:136
	global_load_b64 v[109:110], v58, s[2:3] offset:136
	v_and_b32_e32 v64, 0xffff, v113
	global_load_b64 v[111:112], v61, s[2:3] offset:136
	v_and_b32_e32 v68, 0xffff, v54
	v_lshlrev_b32_e32 v16, 3, v66
	v_mad_u16 v17, 0x44, v76, v114
	v_lshlrev_b32_e32 v14, 3, v64
	v_mad_u16 v18, 0x44, v77, v115
	v_mad_u16 v19, 0x44, v59, v50
	;; [unrolled: 1-line block ×3, first 2 shown]
	global_load_b64 v[105:106], v14, s[2:3] offset:136
	v_lshlrev_b32_e32 v15, 3, v65
	v_and_b32_e32 v24, 0xffff, v18
	v_and_b32_e32 v26, 0xffff, v19
	global_load_b64 v[103:104], v15, s[2:3] offset:136
	v_lshlrev_b32_e32 v14, 3, v67
	v_lshlrev_b32_e32 v15, 3, v68
	s_clause 0x2
	global_load_b64 v[101:102], v16, s[2:3] offset:136
	global_load_b64 v[99:100], v14, s[2:3] offset:136
	;; [unrolled: 1-line block ×3, first 2 shown]
	v_mad_u16 v16, 0x44, v75, v113
	v_and_b32_e32 v23, 0xffff, v17
	v_lshlrev_b32_e32 v144, 3, v24
	v_mul_lo_u16 v14, 0x44, v72
	s_delay_alu instid0(VALU_DEP_4) | instskip(NEXT) | instid1(VALU_DEP_4)
	v_and_b32_e32 v22, 0xffff, v16
	v_lshlrev_b32_e32 v145, 3, v23
	s_delay_alu instid0(VALU_DEP_3) | instskip(NEXT) | instid1(VALU_DEP_3)
	v_and_b32_e32 v14, 0xfc, v14
	v_lshlrev_b32_e32 v148, 3, v22
	ds_load_2addr_b64 v[22:25], v71 offset0:72 offset1:174
	v_and_b32_e32 v15, 0xffff, v47
	v_add_lshl_u32 v146, v14, v73, 3
	v_mad_u16 v14, 0x44, v74, v79
	s_delay_alu instid0(VALU_DEP_1) | instskip(SKIP_1) | instid1(VALU_DEP_1)
	v_and_b32_e32 v21, 0xffff, v14
	s_wait_loadcnt_dscnt 0x300
	v_dual_mul_f32 v58, v23, v104 :: v_dual_lshlrev_b32 v149, 3, v21
	v_mul_u32_u24_e32 v15, 0x44, v15
	s_wait_loadcnt 0x2
	v_dual_mul_f32 v59, v22, v104 :: v_dual_mul_f32 v60, v25, v102
	v_mul_f32_e32 v61, v24, v102
	v_fma_f32 v22, v22, v103, -v58
	v_add_lshl_u32 v147, v15, v62, 3
	ds_load_2addr_b64 v[14:17], v10 offset0:48 offset1:150
	v_fma_f32 v24, v24, v101, -v60
	v_lshlrev_b32_e32 v143, 3, v26
	v_fmac_f32_e32 v59, v23, v103
	v_fmac_f32_e32 v61, v25, v101
                                        ; implicit-def: $vgpr58
	s_wait_dscnt 0x0
	v_mul_f32_e32 v48, v15, v112
	v_mul_f32_e32 v49, v14, v112
	v_mul_f32_e32 v51, v16, v108
	v_mul_f32_e32 v50, v17, v108
	s_delay_alu instid0(VALU_DEP_4)
	v_fma_f32 v14, v14, v111, -v48
	v_and_b32_e32 v27, 0xffff, v20
	ds_load_2addr_b64 v[18:21], v69 offset0:124 offset1:226
	v_fmac_f32_e32 v49, v15, v111
	v_fma_f32 v16, v16, v107, -v50
	v_fmac_f32_e32 v51, v17, v107
	v_lshlrev_b32_e32 v142, 3, v27
	ds_load_2addr_b64 v[26:29], v129 offset1:102
	ds_load_2addr_b64 v[30:33], v12 offset0:148 offset1:250
	ds_load_2addr_b64 v[34:37], v11 offset0:76 offset1:178
	;; [unrolled: 1-line block ×4, first 2 shown]
	v_add_nc_u32_e32 v47, 0x2000, v129
	global_wb scope:SCOPE_SE
	s_wait_loadcnt_dscnt 0x0
	s_barrier_signal -1
	s_barrier_wait -1
	global_inv scope:SCOPE_SE
	v_mul_f32_e32 v54, v19, v110
	v_dual_mul_f32 v55, v18, v110 :: v_dual_mul_f32 v62, v31, v100
	v_mul_f32_e32 v56, v21, v106
	v_mul_f32_e32 v57, v20, v106
	v_dual_mul_f32 v63, v30, v100 :: v_dual_mul_f32 v64, v33, v98
	v_mul_f32_e32 v65, v32, v98
	v_fma_f32 v18, v18, v109, -v54
	v_fmac_f32_e32 v55, v19, v109
	v_fma_f32 v20, v20, v105, -v56
	v_fmac_f32_e32 v57, v21, v105
	;; [unrolled: 2-line block ×3, first 2 shown]
	v_fma_f32 v32, v32, v97, -v64
	v_dual_fmac_f32 v65, v33, v97 :: v_dual_sub_f32 v14, v26, v14
	v_dual_sub_f32 v15, v27, v49 :: v_dual_sub_f32 v16, v28, v16
	v_dual_sub_f32 v17, v29, v51 :: v_dual_add_nc_u32 v46, 0xc00, v129
	v_dual_sub_f32 v19, v35, v55 :: v_dual_sub_f32 v18, v34, v18
	v_dual_sub_f32 v20, v36, v20 :: v_dual_sub_f32 v21, v37, v57
	;; [unrolled: 1-line block ×6, first 2 shown]
	v_fma_f32 v26, v26, 2.0, -v14
	v_fma_f32 v27, v27, 2.0, -v15
	;; [unrolled: 1-line block ×16, first 2 shown]
	ds_store_2addr_b64 v146, v[26:27], v[14:15] offset1:34
	ds_store_2addr_b64 v147, v[28:29], v[16:17] offset1:34
	;; [unrolled: 1-line block ×8, first 2 shown]
	global_wb scope:SCOPE_SE
	s_wait_dscnt 0x0
	s_barrier_signal -1
	s_barrier_wait -1
	global_inv scope:SCOPE_SE
	ds_load_2addr_b64 v[28:31], v129 offset1:102
	ds_load_2addr_b64 v[24:27], v46 offset0:24 offset1:160
	ds_load_2addr_b64 v[36:39], v47 offset0:64 offset1:166
	;; [unrolled: 1-line block ×6, first 2 shown]
	ds_load_b64 v[56:57], v129 offset:11968
	s_and_saveexec_b32 s1, s0
	s_cbranch_execz .LBB0_9
; %bb.8:
	ds_load_b64 v[54:55], v129 offset:4080
	ds_load_b64 v[52:53], v129 offset:8432
	;; [unrolled: 1-line block ×3, first 2 shown]
.LBB0_9:
	s_wait_alu 0xfffe
	s_or_b32 exec_lo, exec_lo, s1
	v_add_co_u32 v10, s1, 0xffffffbc, v128
	s_wait_alu 0xf1ff
	v_add_co_ci_u32_e64 v11, null, 0, -1, s1
	v_cmp_gt_u16_e64 s1, 0x44, v128
	v_mul_lo_u16 v5, 0x79, v5
	v_lshrrev_b32_e32 v62, 22, v6
	v_lshrrev_b32_e32 v63, 22, v9
	;; [unrolled: 1-line block ×3, first 2 shown]
	s_wait_alu 0xf1ff
	v_cndmask_b32_e64 v61, v11, 0, s1
	v_cndmask_b32_e64 v60, v10, v128, s1
	v_lshrrev_b16 v64, 13, v5
	v_mul_lo_u16 v9, 0x44, v62
	v_mul_lo_u16 v10, 0x44, v63
	s_delay_alu instid0(VALU_DEP_4) | instskip(NEXT) | instid1(VALU_DEP_4)
	v_lshlrev_b64_e32 v[5:6], 4, v[60:61]
	v_mul_lo_u16 v11, 0x44, v64
	s_delay_alu instid0(VALU_DEP_4) | instskip(NEXT) | instid1(VALU_DEP_4)
	v_sub_nc_u16 v61, v2, v9
	v_sub_nc_u16 v65, v4, v10
	v_mul_lo_u16 v4, 0x44, v66
	v_add_co_u32 v5, s1, s2, v5
	s_wait_alu 0xf1ff
	v_add_co_ci_u32_e64 v6, s1, s3, v6, s1
	v_sub_nc_u16 v1, v1, v11
	v_sub_nc_u16 v68, v0, v4
	v_lshlrev_b16 v2, 4, v65
	global_load_b128 v[12:15], v[5:6], off offset:408
	v_lshrrev_b32_e32 v5, 22, v8
	v_and_b32_e32 v67, 0xff, v1
	v_lshlrev_b16 v1, 4, v61
	v_mad_u16 v61, 0xcc, v62, v61
	v_mad_u16 v62, 0xcc, v63, v65
	v_mad_u16 v63, 0xcc, v66, v68
	v_and_b32_e32 v2, 0xffff, v2
	v_and_b32_e32 v1, 0xffff, v1
	;; [unrolled: 1-line block ×5, first 2 shown]
	v_mul_lo_u16 v4, 0x44, v5
	v_add_co_u32 v0, s1, s2, v1
	s_delay_alu instid0(VALU_DEP_4)
	v_lshlrev_b32_e32 v80, 3, v62
	s_wait_alu 0xf1ff
	v_add_co_ci_u32_e64 v1, null, s3, 0, s1
	v_lshlrev_b32_e32 v244, 3, v61
	v_sub_nc_u16 v69, v3, v4
	v_lshlrev_b16 v5, 4, v68
	s_delay_alu instid0(VALU_DEP_2) | instskip(SKIP_3) | instid1(VALU_DEP_2)
	v_lshlrev_b16 v4, 4, v69
	s_wait_loadcnt_dscnt 0x5
	v_mul_f32_e32 v62, v37, v15
	v_dual_mul_f32 v61, v26, v13 :: v_dual_lshlrev_b32 v6, 4, v67
	v_fma_f32 v62, v36, v14, -v62
	global_load_b128 v[20:23], v6, s[2:3] offset:408
	v_lshlrev_b32_e32 v151, 3, v63
	v_mul_f32_e32 v63, v36, v15
	v_add_co_u32 v2, s1, s2, v2
	s_wait_alu 0xf1ff
	v_add_co_ci_u32_e64 v3, null, s3, 0, s1
	s_clause 0x1
	global_load_b128 v[16:19], v[0:1], off offset:408
	global_load_b128 v[8:11], v[2:3], off offset:408
	v_and_b32_e32 v5, 0xffff, v5
	v_dual_fmac_f32 v63, v37, v14 :: v_dual_and_b32 v2, 0xffff, v4
	v_and_b32_e32 v64, 0xffff, v64
	v_dual_fmac_f32 v61, v27, v12 :: v_dual_and_b32 v150, 0xffff, v69
	s_wait_loadcnt 0x2
	v_mul_f32_e32 v65, v38, v23
	s_wait_dscnt 0x4
	v_dual_mul_f32 v37, v39, v23 :: v_dual_mul_f32 v36, v41, v21
	s_delay_alu instid0(VALU_DEP_2) | instskip(NEXT) | instid1(VALU_DEP_2)
	v_fmac_f32_e32 v65, v39, v22
	v_fma_f32 v117, v38, v22, -v37
	s_wait_loadcnt_dscnt 0x102
	v_mul_f32_e32 v68, v45, v19
	s_wait_loadcnt 0x0
	v_mul_f32_e32 v72, v47, v11
	v_add_co_u32 v0, s1, s2, v5
	s_wait_alu 0xf1ff
	v_add_co_ci_u32_e64 v1, null, s3, 0, s1
	v_add_co_u32 v2, s1, s2, v2
	s_wait_alu 0xf1ff
	v_add_co_ci_u32_e64 v3, null, s3, 0, s1
	s_clause 0x1
	global_load_b128 v[4:7], v[0:1], off offset:408
	global_load_b128 v[0:3], v[2:3], off offset:408
	v_cmp_lt_u16_e64 s1, 0x43, v128
	v_dual_mul_f32 v66, v43, v17 :: v_dual_mul_f32 v69, v44, v19
	s_wait_dscnt 0x1
	v_mul_f32_e32 v71, v48, v9
	v_mul_f32_e32 v73, v46, v11
	s_wait_alu 0xf1ff
	v_cndmask_b32_e64 v70, 0, 0xcc, s1
	v_fma_f32 v44, v44, v18, -v68
	v_fma_f32 v46, v46, v10, -v72
	global_wb scope:SCOPE_SE
	s_wait_loadcnt_dscnt 0x0
	s_barrier_signal -1
	v_add_lshl_u32 v243, v60, v70, 3
	v_mul_u32_u24_e32 v60, 0xcc, v64
	v_mul_f32_e32 v64, v40, v21
	v_mul_f32_e32 v70, v49, v9
	v_fma_f32 v40, v40, v20, -v36
	s_barrier_wait -1
	v_add_lshl_u32 v245, v60, v67, 3
	v_mul_f32_e32 v60, v27, v13
	v_mul_f32_e32 v67, v42, v17
	v_add_f32_e32 v116, v29, v61
	v_fmac_f32_e32 v64, v41, v20
	v_fmac_f32_e32 v69, v45, v18
	v_fma_f32 v60, v26, v12, -v60
	v_sub_f32_e32 v115, v61, v63
	v_fmac_f32_e32 v67, v43, v16
	v_add_f32_e32 v45, v30, v40
	global_inv scope:SCOPE_SE
	v_add_f32_e32 v114, v60, v62
	v_add_f32_e32 v113, v28, v60
	v_sub_f32_e32 v60, v60, v62
	s_delay_alu instid0(VALU_DEP_3) | instskip(NEXT) | instid1(VALU_DEP_3)
	v_fma_f32 v28, -0.5, v114, v28
	v_dual_add_f32 v38, v113, v62 :: v_dual_mul_f32 v75, v50, v5
	v_mul_f32_e32 v78, v53, v1
	v_mul_f32_e32 v27, v52, v1
	;; [unrolled: 1-line block ×4, first 2 shown]
	v_add_f32_e32 v61, v61, v63
	v_mul_f32_e32 v76, v57, v7
	v_mul_f32_e32 v77, v56, v7
	v_fma_f32 v41, v42, v16, -v66
	v_fmac_f32_e32 v26, v59, v2
	v_mul_f32_e32 v74, v51, v5
	v_fma_f32 v42, v48, v8, -v70
	v_fmac_f32_e32 v71, v49, v8
	v_fmac_f32_e32 v73, v47, v10
	v_fma_f32 v37, v52, v0, -v78
	s_delay_alu instid0(VALU_DEP_4)
	v_dual_fmac_f32 v27, v53, v0 :: v_dual_add_f32 v62, v34, v42
	v_fma_f32 v36, v58, v2, -v79
	v_fma_f32 v29, -0.5, v61, v29
	v_sub_f32_e32 v52, v40, v117
	v_dual_add_f32 v47, v40, v117 :: v_dual_add_f32 v66, v35, v71
	v_fma_f32 v48, v56, v6, -v76
	v_add_f32_e32 v56, v41, v44
	v_fma_f32 v43, v50, v4, -v74
	v_fmac_f32_e32 v75, v51, v4
	v_fmac_f32_e32 v77, v57, v6
	v_dual_add_f32 v39, v116, v63 :: v_dual_sub_f32 v68, v42, v46
	v_dual_sub_f32 v50, v64, v65 :: v_dual_add_f32 v49, v31, v64
	v_add_f32_e32 v70, v24, v43
	v_dual_add_f32 v51, v64, v65 :: v_dual_add_f32 v74, v25, v75
	v_dual_add_f32 v53, v32, v41 :: v_dual_sub_f32 v76, v43, v48
	v_dual_sub_f32 v57, v67, v69 :: v_dual_add_f32 v78, v37, v36
	v_dual_add_f32 v63, v42, v46 :: v_dual_fmamk_f32 v40, v115, 0x3f5db3d7, v28
	v_dual_sub_f32 v64, v71, v73 :: v_dual_sub_f32 v61, v41, v44
	v_dual_sub_f32 v72, v75, v77 :: v_dual_fmamk_f32 v41, v60, 0xbf5db3d7, v29
	v_add_f32_e32 v46, v62, v46
	v_fma_f32 v30, -0.5, v47, v30
	v_dual_add_f32 v113, v27, v26 :: v_dual_add_f32 v58, v33, v67
	v_dual_add_f32 v59, v67, v69 :: v_dual_sub_f32 v114, v37, v36
	v_dual_add_f32 v67, v71, v73 :: v_dual_fmac_f32 v28, 0xbf5db3d7, v115
	v_fma_f32 v32, -0.5, v56, v32
	v_fmac_f32_e32 v29, 0x3f5db3d7, v60
	v_dual_add_f32 v71, v43, v48 :: v_dual_add_f32 v42, v45, v117
	v_dual_add_f32 v75, v75, v77 :: v_dual_add_f32 v44, v53, v44
	v_dual_sub_f32 v79, v27, v26 :: v_dual_add_f32 v48, v70, v48
	v_fmac_f32_e32 v31, -0.5, v51
	v_fma_f32 v117, -0.5, v78, v54
	ds_store_2addr_b64 v243, v[38:39], v[40:41] offset1:68
	ds_store_b64 v243, v[28:29] offset:1088
	v_fmamk_f32 v28, v50, 0x3f5db3d7, v30
	v_fma_f32 v118, -0.5, v113, v55
	v_fma_f32 v33, -0.5, v59, v33
	;; [unrolled: 1-line block ×4, first 2 shown]
	v_fmac_f32_e32 v35, -0.5, v67
	v_dual_add_f32 v43, v49, v65 :: v_dual_fmac_f32 v30, 0xbf5db3d7, v50
	v_dual_fmac_f32 v25, -0.5, v75 :: v_dual_fmamk_f32 v122, v114, 0xbf5db3d7, v118
	v_fmamk_f32 v38, v57, 0x3f5db3d7, v32
	v_dual_fmac_f32 v32, 0xbf5db3d7, v57 :: v_dual_fmamk_f32 v29, v52, 0xbf5db3d7, v31
	v_dual_fmac_f32 v31, 0x3f5db3d7, v52 :: v_dual_fmac_f32 v118, 0x3f5db3d7, v114
	v_fmamk_f32 v121, v79, 0x3f5db3d7, v117
	v_fmac_f32_e32 v117, 0xbf5db3d7, v79
	v_dual_add_f32 v45, v58, v69 :: v_dual_fmamk_f32 v40, v64, 0x3f5db3d7, v34
	v_fmamk_f32 v39, v61, 0xbf5db3d7, v33
	v_fmac_f32_e32 v33, 0x3f5db3d7, v61
	v_dual_add_f32 v47, v66, v73 :: v_dual_fmac_f32 v34, 0xbf5db3d7, v64
	v_fmamk_f32 v50, v72, 0x3f5db3d7, v24
	v_fmamk_f32 v41, v68, 0xbf5db3d7, v35
	v_dual_add_f32 v49, v74, v77 :: v_dual_fmac_f32 v24, 0xbf5db3d7, v72
	v_fmac_f32_e32 v35, 0x3f5db3d7, v68
	v_fmamk_f32 v51, v76, 0xbf5db3d7, v25
	v_fmac_f32_e32 v25, 0x3f5db3d7, v76
	ds_store_2addr_b64 v245, v[42:43], v[28:29] offset1:68
	ds_store_b64 v245, v[30:31] offset:1088
	ds_store_2addr_b64 v244, v[44:45], v[38:39] offset1:68
	ds_store_b64 v244, v[32:33] offset:1088
	;; [unrolled: 2-line block ×4, first 2 shown]
	s_and_saveexec_b32 s1, s0
	s_cbranch_execz .LBB0_11
; %bb.10:
	v_dual_add_f32 v24, v55, v27 :: v_dual_add_f32 v27, v54, v37
	v_lshlrev_b32_e32 v28, 3, v150
	s_delay_alu instid0(VALU_DEP_2) | instskip(NEXT) | instid1(VALU_DEP_2)
	v_dual_add_f32 v25, v24, v26 :: v_dual_add_f32 v24, v27, v36
	v_add_nc_u32_e32 v26, 0x2800, v28
	ds_store_2addr_b64 v26, v[24:25], v[121:122] offset0:148 offset1:216
	ds_store_b64 v28, v[117:118] offset:12512
.LBB0_11:
	s_wait_alu 0xfffe
	s_or_b32 exec_lo, exec_lo, s1
	v_mad_co_u64_u32 v[48:49], null, v128, 56, s[2:3]
	global_wb scope:SCOPE_SE
	s_wait_dscnt 0x0
	s_barrier_signal -1
	s_barrier_wait -1
	global_inv scope:SCOPE_SE
	s_clause 0x7
	global_load_b128 v[44:47], v[48:49], off offset:1496
	global_load_b128 v[36:39], v[48:49], off offset:1512
	;; [unrolled: 1-line block ×3, first 2 shown]
	global_load_b64 v[115:116], v[48:49], off offset:1544
	global_load_b128 v[40:43], v[48:49], off offset:7208
	global_load_b128 v[32:35], v[48:49], off offset:7224
	;; [unrolled: 1-line block ×3, first 2 shown]
	global_load_b64 v[113:114], v[48:49], off offset:7256
	v_add_nc_u32_e32 v120, 0x800, v129
	v_add_nc_u32_e32 v153, 0x1800, v129
	;; [unrolled: 1-line block ×5, first 2 shown]
	ds_load_2addr_b64 v[52:55], v120 offset0:152 offset1:254
	ds_load_2addr_b64 v[60:63], v153 offset0:48 offset1:150
	v_add_nc_u32_e32 v119, 0x400, v129
	v_add_nc_u32_e32 v152, 0x1000, v129
	s_wait_loadcnt_dscnt 0x701
	v_mul_f32_e32 v160, v52, v47
	s_wait_loadcnt_dscnt 0x600
	v_mul_f32_e32 v163, v61, v39
	ds_load_2addr_b64 v[48:51], v119 offset0:76 offset1:178
	ds_load_2addr_b64 v[56:59], v152 offset0:100 offset1:202
	;; [unrolled: 1-line block ×5, first 2 shown]
	ds_load_2addr_b64 v[76:79], v129 offset1:102
	v_mul_f32_e32 v159, v53, v47
	v_mul_f32_e32 v164, v60, v39
	v_fmac_f32_e32 v160, v53, v46
	v_fma_f32 v53, v60, v38, -v163
	s_wait_loadcnt 0x2
	v_mul_f32_e32 v178, v62, v35
	v_mul_f32_e32 v173, v55, v43
	;; [unrolled: 1-line block ×4, first 2 shown]
	s_wait_dscnt 0x3
	v_mul_f32_e32 v165, v65, v29
	s_wait_dscnt 0x1
	v_dual_mul_f32 v157, v49, v45 :: v_dual_mul_f32 v170, v72, v116
	v_mul_f32_e32 v158, v48, v45
	v_dual_mul_f32 v161, v57, v37 :: v_dual_mul_f32 v168, v68, v31
	s_wait_loadcnt 0x0
	v_dual_mul_f32 v175, v59, v33 :: v_dual_mul_f32 v184, v74, v114
	v_dual_mul_f32 v162, v56, v37 :: v_dual_mul_f32 v167, v69, v31
	;; [unrolled: 1-line block ×3, first 2 shown]
	v_dual_mul_f32 v179, v67, v25 :: v_dual_fmac_f32 v158, v49, v44
	v_fma_f32 v48, v48, v44, -v157
	v_fma_f32 v49, v52, v46, -v159
	;; [unrolled: 1-line block ×4, first 2 shown]
	v_fmac_f32_e32 v184, v75, v113
	v_fmac_f32_e32 v168, v69, v30
	v_dual_mul_f32 v166, v64, v29 :: v_dual_mul_f32 v181, v71, v27
	v_dual_mul_f32 v171, v51, v41 :: v_dual_mul_f32 v182, v70, v27
	s_wait_dscnt 0x0
	v_sub_f32_e32 v53, v76, v53
	v_mul_f32_e32 v176, v58, v33
	v_sub_f32_e32 v56, v48, v56
	v_dual_fmac_f32 v178, v63, v34 :: v_dual_sub_f32 v63, v160, v168
	v_fmac_f32_e32 v174, v55, v42
	v_fma_f32 v55, v62, v34, -v177
	v_fmac_f32_e32 v162, v57, v36
	v_fma_f32 v57, v68, v30, -v167
	;; [unrolled: 2-line block ×3, first 2 shown]
	v_fma_f32 v54, v58, v32, -v175
	v_fmac_f32_e32 v164, v61, v38
	v_fma_f32 v61, v74, v113, -v183
	v_fma_f32 v50, v50, v40, -v171
	;; [unrolled: 1-line block ×3, first 2 shown]
	v_sub_f32_e32 v57, v49, v57
	v_sub_f32_e32 v55, v78, v55
	v_dual_sub_f32 v61, v54, v61 :: v_dual_sub_f32 v62, v77, v164
	v_fmac_f32_e32 v176, v59, v32
	v_fma_f32 v59, v70, v26, -v181
	v_mul_f32_e32 v180, v66, v25
	v_sub_f32_e32 v58, v50, v58
	v_fma_f32 v49, v49, 2.0, -v57
	v_add_f32_e32 v57, v62, v57
	v_sub_f32_e32 v59, v51, v59
	v_sub_f32_e32 v69, v176, v184
	v_fmac_f32_e32 v180, v67, v24
	v_mul_f32_e32 v169, v73, v116
	v_sub_f32_e32 v75, v53, v63
	v_fma_f32 v70, v76, 2.0, -v53
	v_fma_f32 v157, v176, 2.0, -v69
	v_dual_sub_f32 v69, v58, v69 :: v_dual_sub_f32 v68, v172, v180
	v_fmac_f32_e32 v182, v71, v26
	v_fma_f32 v60, v72, v115, -v169
	v_fma_f32 v51, v51, 2.0, -v59
	v_sub_f32_e32 v49, v70, v49
	v_dual_add_f32 v159, v68, v61 :: v_dual_fmac_f32 v170, v73, v115
	v_dual_sub_f32 v67, v174, v182 :: v_dual_fmac_f32 v166, v65, v28
	v_sub_f32_e32 v60, v52, v60
	v_fma_f32 v72, v160, 2.0, -v63
	s_delay_alu instid0(VALU_DEP_4)
	v_sub_f32_e32 v65, v162, v170
	v_fma_f32 v54, v54, 2.0, -v61
	v_sub_f32_e32 v64, v158, v166
	v_fma_f32 v52, v52, 2.0, -v60
	v_fma_f32 v161, v53, 2.0, -v75
	;; [unrolled: 1-line block ×3, first 2 shown]
	v_sub_f32_e32 v65, v56, v65
	v_add_f32_e32 v76, v64, v60
	v_fma_f32 v60, v174, 2.0, -v67
	v_sub_f32_e32 v66, v79, v178
	v_sub_f32_e32 v67, v55, v67
	v_fma_f32 v71, v77, 2.0, -v62
	v_fma_f32 v77, v78, 2.0, -v55
	;; [unrolled: 1-line block ×4, first 2 shown]
	v_fmamk_f32 v63, v76, 0x3f3504f3, v57
	v_fma_f32 v73, v158, 2.0, -v64
	v_sub_f32_e32 v160, v71, v72
	v_fma_f32 v164, v55, 2.0, -v67
	v_sub_f32_e32 v163, v78, v60
	v_dual_add_f32 v158, v66, v59 :: v_dual_fmac_f32 v63, 0x3f3504f3, v65
	v_fma_f32 v166, v68, 2.0, -v159
	v_sub_f32_e32 v53, v73, v74
	v_fma_f32 v168, v71, 2.0, -v160
	s_delay_alu instid0(VALU_DEP_4)
	v_fma_f32 v165, v66, 2.0, -v158
	v_fma_f32 v48, v48, 2.0, -v56
	;; [unrolled: 1-line block ×5, first 2 shown]
	v_fmamk_f32 v59, v166, 0xbf3504f3, v165
	v_fma_f32 v64, v64, 2.0, -v76
	v_sub_f32_e32 v51, v77, v51
	v_sub_f32_e32 v60, v49, v53
	v_fma_f32 v167, v70, 2.0, -v49
	s_delay_alu instid0(VALU_DEP_4)
	v_fmamk_f32 v71, v64, 0xbf3504f3, v162
	v_fmamk_f32 v55, v159, 0x3f3504f3, v158
	v_fma_f32 v50, v50, 2.0, -v58
	v_sub_f32_e32 v72, v79, v157
	v_fma_f32 v157, v58, 2.0, -v69
	v_fmac_f32_e32 v71, 0x3f3504f3, v56
	s_delay_alu instid0(VALU_DEP_4) | instskip(SKIP_2) | instid1(VALU_DEP_3)
	v_dual_fmac_f32 v55, 0x3f3504f3, v69 :: v_dual_sub_f32 v66, v50, v54
	v_dual_fmamk_f32 v54, v69, 0x3f3504f3, v67 :: v_dual_sub_f32 v69, v168, v73
	v_sub_f32_e32 v52, v48, v52
	v_dual_fmamk_f32 v58, v157, 0xbf3504f3, v164 :: v_dual_add_f32 v53, v163, v66
	v_fmamk_f32 v62, v65, 0x3f3504f3, v75
	v_fma_f32 v50, v50, 2.0, -v66
	s_delay_alu instid0(VALU_DEP_4)
	v_add_f32_e32 v61, v160, v52
	v_fma_f32 v48, v48, 2.0, -v52
	v_fma_f32 v65, v79, 2.0, -v72
	v_fmac_f32_e32 v62, 0xbf3504f3, v76
	v_fma_f32 v76, v77, 2.0, -v51
	v_fma_f32 v77, v78, 2.0, -v163
	v_fmamk_f32 v70, v56, 0xbf3504f3, v161
	v_dual_sub_f32 v52, v51, v72 :: v_dual_fmac_f32 v59, 0x3f3504f3, v157
	v_fmac_f32_e32 v54, 0xbf3504f3, v159
	v_sub_f32_e32 v68, v167, v48
	v_fma_f32 v74, v75, 2.0, -v62
	v_fma_f32 v75, v57, 2.0, -v63
	v_dual_sub_f32 v56, v76, v50 :: v_dual_sub_f32 v57, v77, v65
	v_fmac_f32_e32 v70, 0xbf3504f3, v64
	v_fmac_f32_e32 v58, 0xbf3504f3, v166
	v_fma_f32 v72, v49, 2.0, -v60
	v_fma_f32 v73, v160, 2.0, -v61
	;; [unrolled: 1-line block ×14, first 2 shown]
	ds_store_2addr_b64 v155, v[60:61], v[52:53] offset0:72 offset1:174
	ds_store_2addr_b64 v156, v[62:63], v[54:55] offset0:148 offset1:250
	ds_store_2addr_b64 v120, v[72:73], v[64:65] offset0:152 offset1:254
	ds_store_2addr_b64 v152, v[74:75], v[66:67] offset0:100 offset1:202
	ds_store_2addr_b64 v153, v[68:69], v[56:57] offset0:48 offset1:150
	ds_store_2addr_b64 v154, v[70:71], v[58:59] offset0:124 offset1:226
	ds_store_2addr_b64 v129, v[48:49], v[76:77] offset1:102
	ds_store_2addr_b64 v119, v[50:51], v[78:79] offset0:76 offset1:178
	global_wb scope:SCOPE_SE
	s_wait_dscnt 0x0
	s_barrier_signal -1
	s_barrier_wait -1
	global_inv scope:SCOPE_SE
	s_and_saveexec_b32 s1, vcc_lo
	s_cbranch_execz .LBB0_13
; %bb.12:
	global_load_b64 v[119:120], v124, s[12:13] offset:13056
	s_add_nc_u64 s[2:3], s[12:13], 0x3300
	s_clause 0xf
	global_load_b64 v[184:185], v124, s[2:3] offset:768
	global_load_b64 v[186:187], v124, s[2:3] offset:1536
	;; [unrolled: 1-line block ×16, first 2 shown]
	ds_load_b64 v[152:153], v129
	v_add_nc_u32_e32 v216, 0x800, v124
	s_wait_loadcnt_dscnt 0x1000
	v_mul_f32_e32 v154, v153, v120
	v_mul_f32_e32 v155, v152, v120
	s_delay_alu instid0(VALU_DEP_2) | instskip(NEXT) | instid1(VALU_DEP_2)
	v_fma_f32 v154, v152, v119, -v154
	v_fmac_f32_e32 v155, v153, v119
	ds_store_b64 v129, v[154:155]
	ds_load_2addr_b64 v[152:155], v124 offset0:96 offset1:192
	v_add_nc_u32_e32 v217, 0xc00, v124
	v_add_nc_u32_e32 v218, 0x1400, v124
	ds_load_2addr_b64 v[156:159], v216 offset0:32 offset1:128
	v_add_nc_u32_e32 v220, 0x2000, v124
	s_wait_loadcnt_dscnt 0xf01
	v_dual_mul_f32 v119, v153, v185 :: v_dual_add_nc_u32 v222, 0x2c00, v124
	ds_load_2addr_b64 v[164:167], v218 offset0:32 offset1:128
	v_mul_f32_e32 v120, v152, v185
	ds_load_2addr_b64 v[160:163], v217 offset0:96 offset1:192
	v_add_nc_u32_e32 v219, 0x1800, v124
	v_add_nc_u32_e32 v221, 0x2400, v124
	s_wait_loadcnt 0xe
	v_mul_f32_e32 v223, v155, v187
	v_mul_f32_e32 v185, v154, v187
	s_wait_loadcnt_dscnt 0xd02
	v_mul_f32_e32 v187, v156, v189
	v_mul_f32_e32 v224, v157, v189
	v_fma_f32 v119, v152, v184, -v119
	v_fmac_f32_e32 v120, v153, v184
	v_fma_f32 v184, v154, v186, -v223
	v_fmac_f32_e32 v185, v155, v186
	v_fma_f32 v186, v156, v188, -v224
	v_fmac_f32_e32 v187, v157, v188
	s_wait_loadcnt_dscnt 0x801
	v_dual_mul_f32 v228, v165, v197 :: v_dual_mul_f32 v229, v167, v199
	s_wait_dscnt 0x0
	v_mul_f32_e32 v226, v161, v193
	ds_load_2addr_b64 v[168:171], v219 offset0:96 offset1:192
	ds_load_2addr_b64 v[172:175], v220 offset0:32 offset1:128
	;; [unrolled: 1-line block ×4, first 2 shown]
	v_mul_f32_e32 v225, v159, v191
	v_mul_f32_e32 v189, v158, v191
	;; [unrolled: 1-line block ×7, first 2 shown]
	v_fmac_f32_e32 v191, v161, v192
	s_delay_alu instid0(VALU_DEP_3) | instskip(SKIP_1) | instid1(VALU_DEP_3)
	v_fmac_f32_e32 v195, v165, v196
	s_wait_loadcnt_dscnt 0x703
	v_dual_fmac_f32 v197, v167, v198 :: v_dual_mul_f32 v230, v169, v201
	v_mul_f32_e32 v199, v168, v201
	s_wait_loadcnt_dscnt 0x100
	v_dual_mul_f32 v231, v171, v203 :: v_dual_mul_f32 v236, v181, v213
	v_dual_mul_f32 v201, v170, v203 :: v_dual_mul_f32 v232, v173, v205
	v_mul_f32_e32 v203, v172, v205
	v_mul_f32_e32 v233, v175, v207
	v_dual_mul_f32 v205, v174, v207 :: v_dual_mul_f32 v234, v177, v209
	v_mul_f32_e32 v207, v176, v209
	v_mul_f32_e32 v235, v179, v211
	;; [unrolled: 1-line block ×4, first 2 shown]
	s_wait_loadcnt 0x0
	v_mul_f32_e32 v237, v183, v215
	v_mul_f32_e32 v213, v182, v215
	v_fma_f32 v188, v158, v190, -v225
	v_fmac_f32_e32 v189, v159, v190
	v_fma_f32 v190, v160, v192, -v226
	v_fma_f32 v192, v162, v194, -v227
	v_fmac_f32_e32 v193, v163, v194
	v_fma_f32 v194, v164, v196, -v228
	v_fma_f32 v196, v166, v198, -v229
	;; [unrolled: 1-line block ×3, first 2 shown]
	v_fmac_f32_e32 v199, v169, v200
	v_fma_f32 v200, v170, v202, -v231
	v_fmac_f32_e32 v201, v171, v202
	v_fma_f32 v202, v172, v204, -v232
	;; [unrolled: 2-line block ×7, first 2 shown]
	v_fmac_f32_e32 v213, v183, v214
	ds_store_2addr_b64 v124, v[119:120], v[184:185] offset0:96 offset1:192
	ds_store_2addr_b64 v216, v[186:187], v[188:189] offset0:32 offset1:128
	;; [unrolled: 1-line block ×8, first 2 shown]
.LBB0_13:
	s_wait_alu 0xfffe
	s_or_b32 exec_lo, exec_lo, s1
	global_wb scope:SCOPE_SE
	s_wait_dscnt 0x0
	s_barrier_signal -1
	s_barrier_wait -1
	global_inv scope:SCOPE_SE
	s_and_saveexec_b32 s1, vcc_lo
	s_cbranch_execz .LBB0_15
; %bb.14:
	v_add_nc_u32_e32 v52, 0x400, v129
	v_add_nc_u32_e32 v53, 0x800, v129
	;; [unrolled: 1-line block ×3, first 2 shown]
	ds_load_2addr_b64 v[48:51], v129 offset1:96
	v_add_nc_u32_e32 v55, 0x2000, v129
	ds_load_2addr_b64 v[72:75], v52 offset0:64 offset1:160
	ds_load_2addr_b64 v[68:71], v53 offset0:128 offset1:224
	v_add_nc_u32_e32 v52, 0x1800, v129
	v_add_nc_u32_e32 v53, 0x1c00, v129
	;; [unrolled: 1-line block ×3, first 2 shown]
	ds_load_2addr_b64 v[60:63], v54 offset0:64 offset1:160
	ds_load_2addr_b64 v[76:79], v52 offset1:96
	ds_load_2addr_b64 v[64:67], v53 offset0:64 offset1:160
	ds_load_2addr_b64 v[56:59], v55 offset0:128 offset1:224
	;; [unrolled: 1-line block ×3, first 2 shown]
	ds_load_b64 v[121:122], v129 offset:12288
.LBB0_15:
	s_wait_alu 0xfffe
	s_or_b32 exec_lo, exec_lo, s1
	s_wait_dscnt 0x0
	v_dual_sub_f32 v195, v51, v122 :: v_dual_add_f32 v196, v122, v51
	v_add_f32_e32 v166, v59, v69
	v_dual_add_f32 v194, v121, v50 :: v_dual_sub_f32 v197, v50, v121
	s_delay_alu instid0(VALU_DEP_3) | instskip(SKIP_3) | instid1(VALU_DEP_4)
	v_dual_mul_f32 v198, 0xbeb8f4ab, v195 :: v_dual_sub_f32 v169, v75, v53
	v_sub_f32_e32 v134, v73, v55
	v_dual_add_f32 v162, v53, v75 :: v_dual_sub_f32 v157, v68, v58
	v_mul_f32_e32 v131, 0x3dbcf732, v166
	v_dual_add_f32 v154, v52, v74 :: v_dual_mul_f32 v185, 0xbf65296c, v169
	v_add_f32_e32 v158, v55, v73
	v_add_f32_e32 v152, v54, v72
	v_fma_f32 v119, 0x3f6eb680, v194, -v198
	v_mul_f32_e32 v132, 0x3f6eb680, v196
	v_fmamk_f32 v161, v157, 0xbf7ee86f, v131
	v_fma_f32 v159, 0x3ee437d1, v154, -v185
	v_mul_f32_e32 v204, 0xbf2c7751, v134
	v_dual_sub_f32 v220, v72, v54 :: v_dual_sub_f32 v171, v69, v59
	v_mul_f32_e32 v203, 0x3f3d2fb0, v158
	v_add_f32_e32 v119, v48, v119
	s_delay_alu instid0(VALU_DEP_4) | instskip(SKIP_3) | instid1(VALU_DEP_3)
	v_fma_f32 v155, 0x3f3d2fb0, v152, -v204
	v_fmamk_f32 v120, v197, 0xbeb8f4ab, v132
	v_mul_f32_e32 v127, 0x3ee437d1, v162
	v_dual_fmamk_f32 v156, v220, 0xbf2c7751, v203 :: v_dual_sub_f32 v173, v71, v57
	v_dual_add_f32 v119, v155, v119 :: v_dual_add_f32 v120, v49, v120
	v_dual_sub_f32 v155, v74, v52 :: v_dual_mul_f32 v130, 0xbf7ee86f, v171
	s_delay_alu instid0(VALU_DEP_3) | instskip(NEXT) | instid1(VALU_DEP_3)
	v_mul_f32_e32 v199, 0xbf763a35, v173
	v_dual_add_f32 v119, v159, v119 :: v_dual_add_f32 v120, v156, v120
	s_delay_alu instid0(VALU_DEP_3) | instskip(SKIP_2) | instid1(VALU_DEP_3)
	v_dual_fmamk_f32 v160, v155, 0xbf65296c, v127 :: v_dual_sub_f32 v175, v61, v67
	v_dual_add_f32 v156, v58, v68 :: v_dual_add_f32 v159, v56, v70
	v_add_f32_e32 v172, v67, v61
	v_dual_add_f32 v120, v160, v120 :: v_dual_mul_f32 v179, 0xbf4c4adb, v175
	v_sub_f32_e32 v163, v60, v66
	s_delay_alu instid0(VALU_DEP_4) | instskip(SKIP_1) | instid1(VALU_DEP_4)
	v_fma_f32 v164, 0xbe8c1d8e, v159, -v199
	v_sub_f32_e32 v178, v77, v79
	v_add_f32_e32 v120, v161, v120
	v_add_f32_e32 v161, v66, v60
	v_fma_f32 v160, 0x3dbcf732, v156, -v130
	global_wb scope:SCOPE_SE
	s_barrier_signal -1
	s_barrier_wait -1
	global_inv scope:SCOPE_SE
	v_dual_add_f32 v119, v160, v119 :: v_dual_sub_f32 v160, v70, v56
	v_add_f32_e32 v170, v57, v71
	v_dual_mul_f32 v180, 0xbf1a4643, v172 :: v_dual_sub_f32 v177, v63, v65
	s_delay_alu instid0(VALU_DEP_3) | instskip(NEXT) | instid1(VALU_DEP_3)
	v_add_f32_e32 v119, v164, v119
	v_dual_add_f32 v176, v65, v63 :: v_dual_mul_f32 v167, 0xbe8c1d8e, v170
	s_delay_alu instid0(VALU_DEP_3) | instskip(NEXT) | instid1(VALU_DEP_2)
	v_dual_mul_f32 v219, 0xbf06c442, v177 :: v_dual_add_f32 v164, v64, v62
	v_mul_f32_e32 v181, 0xbf59a7d5, v176
	s_delay_alu instid0(VALU_DEP_3) | instskip(NEXT) | instid1(VALU_DEP_3)
	v_fmamk_f32 v165, v160, 0xbf763a35, v167
	v_fma_f32 v200, 0xbf59a7d5, v164, -v219
	s_delay_alu instid0(VALU_DEP_2) | instskip(SKIP_1) | instid1(VALU_DEP_1)
	v_add_f32_e32 v120, v165, v120
	v_fma_f32 v165, 0xbf1a4643, v161, -v179
	v_dual_fmamk_f32 v168, v163, 0xbf4c4adb, v180 :: v_dual_add_f32 v119, v165, v119
	v_dual_add_f32 v174, v79, v77 :: v_dual_add_f32 v165, v78, v76
	s_delay_alu instid0(VALU_DEP_2) | instskip(NEXT) | instid1(VALU_DEP_2)
	v_dual_add_f32 v119, v200, v119 :: v_dual_sub_f32 v218, v62, v64
	v_dual_mul_f32 v183, 0xbf7ba420, v174 :: v_dual_add_f32 v120, v168, v120
	v_sub_f32_e32 v168, v76, v78
	v_mul_f32_e32 v182, 0xbe3c28d5, v178
	s_delay_alu instid0(VALU_DEP_4) | instskip(NEXT) | instid1(VALU_DEP_1)
	v_fmamk_f32 v201, v218, 0xbf06c442, v181
	v_dual_add_f32 v120, v201, v120 :: v_dual_fmamk_f32 v201, v168, 0xbe3c28d5, v183
	s_delay_alu instid0(VALU_DEP_3) | instskip(NEXT) | instid1(VALU_DEP_1)
	v_fma_f32 v200, 0xbf7ba420, v165, -v182
	v_dual_add_f32 v119, v200, v119 :: v_dual_add_f32 v120, v201, v120
	s_and_saveexec_b32 s1, vcc_lo
	s_cbranch_execz .LBB0_17
; %bb.16:
	v_dual_add_f32 v51, v51, v49 :: v_dual_add_f32 v50, v50, v48
	v_dual_mul_f32 v216, 0xbf06c442, v168 :: v_dual_mul_f32 v223, 0xbf06c442, v163
	v_mul_f32_e32 v210, 0xbeb8f4ab, v163
	s_delay_alu instid0(VALU_DEP_3) | instskip(SKIP_3) | instid1(VALU_DEP_4)
	v_dual_add_f32 v51, v73, v51 :: v_dual_add_f32 v50, v72, v50
	v_mul_f32_e32 v212, 0xbf7ee86f, v218
	v_mov_b32_e32 v192, v147
	v_mul_f32_e32 v214, 0xbeb8f4ab, v175
	v_dual_add_f32 v51, v75, v51 :: v_dual_add_f32 v50, v74, v50
	v_dual_mul_f32 v232, 0x3f2c7751, v155 :: v_dual_mul_f32 v235, 0x3f2c7751, v169
	v_dual_mul_f32 v222, 0x3f763a35, v169 :: v_dual_mov_b32 v193, v148
	s_delay_alu instid0(VALU_DEP_3) | instskip(SKIP_2) | instid1(VALU_DEP_3)
	v_dual_add_f32 v51, v69, v51 :: v_dual_add_f32 v50, v68, v50
	v_mul_f32_e32 v224, 0x3eb8f4ab, v171
	v_dual_mul_f32 v226, 0xbf65296c, v173 :: v_dual_mul_f32 v237, 0xbf65296c, v171
	v_dual_add_f32 v51, v71, v51 :: v_dual_add_f32 v50, v70, v50
	v_dual_mul_f32 v229, 0x3f2c7751, v168 :: v_dual_mul_f32 v230, 0x3f2c7751, v178
	v_mul_f32_e32 v71, 0xbf763a35, v195
	s_delay_alu instid0(VALU_DEP_3) | instskip(SKIP_3) | instid1(VALU_DEP_4)
	v_dual_add_f32 v51, v61, v51 :: v_dual_add_f32 v50, v60, v50
	v_mul_f32_e32 v60, 0xbf763a35, v197
	v_mul_f32_e32 v228, 0x3f4c4adb, v177
	;; [unrolled: 1-line block ×3, first 2 shown]
	v_dual_add_f32 v51, v63, v51 :: v_dual_add_f32 v50, v62, v50
	v_mul_f32_e32 v62, 0xbf7ee86f, v197
	v_fmamk_f32 v61, v196, 0xbe8c1d8e, v60
	v_mul_f32_e32 v68, 0xbf65296c, v195
	s_delay_alu instid0(VALU_DEP_4) | instskip(NEXT) | instid1(VALU_DEP_4)
	v_dual_add_f32 v51, v77, v51 :: v_dual_add_f32 v50, v76, v50
	v_fmamk_f32 v63, v196, 0x3dbcf732, v62
	v_fma_f32 v60, 0xbe8c1d8e, v196, -v60
	v_fma_f32 v62, 0x3dbcf732, v196, -v62
	s_delay_alu instid0(VALU_DEP_4) | instskip(SKIP_3) | instid1(VALU_DEP_4)
	v_dual_add_f32 v51, v79, v51 :: v_dual_add_f32 v50, v78, v50
	v_fma_f32 v79, 0x3dbcf732, v194, -v69
	v_fma_f32 v78, 0xbe8c1d8e, v194, -v71
	v_fmac_f32_e32 v71, 0xbe8c1d8e, v194
	v_dual_add_f32 v51, v65, v51 :: v_dual_add_f32 v50, v64, v50
	v_mul_f32_e32 v234, 0x3f06c442, v134
	s_delay_alu instid0(VALU_DEP_4) | instskip(SKIP_1) | instid1(VALU_DEP_4)
	v_add_f32_e32 v78, v48, v78
	v_mov_b32_e32 v148, v239
	v_dual_add_f32 v51, v67, v51 :: v_dual_add_f32 v50, v66, v50
	v_mul_f32_e32 v236, 0x3f7ee86f, v163
	v_dual_mov_b32 v206, v245 :: v_dual_mul_f32 v249, 0xbf06c442, v171
	s_delay_alu instid0(VALU_DEP_3) | instskip(SKIP_2) | instid1(VALU_DEP_3)
	v_dual_add_f32 v51, v57, v51 :: v_dual_add_f32 v50, v56, v50
	v_dual_mul_f32 v56, 0xbf06c442, v197 :: v_dual_add_f32 v79, v48, v79
	v_mul_f32_e32 v73, 0xbf4c4adb, v195
	v_dual_add_f32 v51, v59, v51 :: v_dual_add_f32 v50, v58, v50
	s_delay_alu instid0(VALU_DEP_3) | instskip(SKIP_1) | instid1(VALU_DEP_3)
	v_fmamk_f32 v57, v196, 0xbf59a7d5, v56
	v_mul_f32_e32 v72, 0xbf06c442, v195
	v_dual_mul_f32 v58, 0xbf4c4adb, v197 :: v_dual_add_f32 v51, v53, v51
	s_delay_alu instid0(VALU_DEP_4) | instskip(SKIP_1) | instid1(VALU_DEP_4)
	v_add_f32_e32 v50, v52, v50
	v_fma_f32 v56, 0xbf59a7d5, v196, -v56
	v_fma_f32 v76, 0xbf59a7d5, v194, -v72
	s_delay_alu instid0(VALU_DEP_4) | instskip(NEXT) | instid1(VALU_DEP_4)
	v_fmamk_f32 v59, v196, 0xbf1a4643, v58
	v_dual_add_f32 v51, v55, v51 :: v_dual_add_f32 v50, v54, v50
	v_dual_mul_f32 v54, 0xbe3c28d5, v197 :: v_dual_add_f32 v63, v49, v63
	v_mul_f32_e32 v64, 0xbf65296c, v197
	v_fma_f32 v77, 0xbf1a4643, v194, -v73
	v_mul_f32_e32 v70, 0xbe3c28d5, v195
	s_delay_alu instid0(VALU_DEP_4)
	v_fmamk_f32 v55, v196, 0xbf7ba420, v54
	v_fma_f32 v54, 0xbf7ba420, v196, -v54
	v_dual_fmac_f32 v73, 0xbf1a4643, v194 :: v_dual_add_f32 v76, v48, v76
	v_mul_f32_e32 v74, 0xbf2c7751, v195
	v_fma_f32 v195, 0x3ee437d1, v194, -v68
	v_mul_f32_e32 v53, 0x3f6eb680, v194
	v_fma_f32 v58, 0xbf1a4643, v196, -v58
	v_fmamk_f32 v65, v196, 0x3ee437d1, v64
	v_fma_f32 v64, 0x3ee437d1, v196, -v64
	v_mul_f32_e32 v66, 0x3f3d2fb0, v196
	v_dual_fmac_f32 v72, 0xbf59a7d5, v194 :: v_dual_add_f32 v71, v48, v71
	v_fmac_f32_e32 v68, 0x3ee437d1, v194
	v_fmac_f32_e32 v69, 0x3dbcf732, v194
	v_add_f32_e32 v77, v48, v77
	v_fma_f32 v75, 0xbf7ba420, v194, -v70
	v_dual_fmac_f32 v70, 0xbf7ba420, v194 :: v_dual_add_f32 v73, v48, v73
	v_fmamk_f32 v196, v194, 0x3f3d2fb0, v74
	v_fma_f32 v74, 0x3f3d2fb0, v194, -v74
	v_add_f32_e32 v194, v48, v195
	v_dual_mul_f32 v52, 0xbeb8f4ab, v197 :: v_dual_add_f32 v53, v53, v198
	v_add_f32_e32 v198, v49, v54
	v_add_f32_e32 v54, v49, v56
	s_delay_alu instid0(VALU_DEP_3)
	v_dual_fmamk_f32 v67, v197, 0x3f2c7751, v66 :: v_dual_sub_f32 v52, v132, v52
	v_mul_f32_e32 v211, 0x3f763a35, v171
	v_add_f32_e32 v195, v49, v57
	scratch_store_b32 off, v54, off offset:80 ; 4-byte Folded Spill
	v_add_f32_e32 v54, v49, v58
	v_add_f32_e32 v52, v49, v52
	;; [unrolled: 1-line block ×5, first 2 shown]
	scratch_store_b32 off, v54, off offset:76 ; 4-byte Folded Spill
	v_add_f32_e32 v54, v49, v60
	v_dual_add_f32 v61, v49, v61 :: v_dual_add_f32 v72, v48, v72
	scratch_store_b32 off, v52, off offset:60 ; 4-byte Folded Spill
	v_add_f32_e32 v52, v48, v53
	scratch_store_b32 off, v54, off offset:72 ; 4-byte Folded Spill
	v_dual_add_f32 v54, v49, v62 :: v_dual_mul_f32 v213, 0x3f2c7751, v173
	v_mul_f32_e32 v208, 0xbf4c4adb, v134
	v_mul_f32_e32 v209, 0x3e3c28d5, v169
	v_fmamk_f32 v58, v162, 0x3f3d2fb0, v232
	scratch_store_b32 off, v54, off offset:44 ; 4-byte Folded Spill
	v_add_f32_e32 v54, v48, v69
	v_mul_f32_e32 v56, 0xbe3c28d5, v220
	v_mov_b32_e32 v202, v150
	v_dual_mov_b32 v150, v241 :: v_dual_mul_f32 v69, 0x3f763a35, v220
	scratch_store_b32 off, v54, off offset:40 ; 4-byte Folded Spill
	v_add_f32_e32 v54, v49, v64
	v_add_f32_e32 v65, v49, v65
	v_dual_fmac_f32 v66, 0xbf2c7751, v197 :: v_dual_add_f32 v197, v49, v55
	v_mul_f32_e32 v215, 0xbf7ee86f, v177
	scratch_store_b32 off, v54, off offset:68 ; 4-byte Folded Spill
	v_dual_add_f32 v54, v48, v68 :: v_dual_mul_f32 v55, 0x3f763a35, v155
	v_dual_mul_f32 v68, 0xbf7ee86f, v155 :: v_dual_mul_f32 v125, 0xbf7ee86f, v169
	v_mul_f32_e32 v246, 0x3f763a35, v134
	scratch_store_b32 off, v54, off offset:64 ; 4-byte Folded Spill
	v_add_f32_e32 v54, v49, v67
	v_dual_add_f32 v49, v49, v66 :: v_dual_fmamk_f32 v62, v162, 0x3dbcf732, v68
	v_mul_f32_e32 v248, 0xbf2c7751, v163
	v_dual_mul_f32 v250, 0xbe3c28d5, v218 :: v_dual_mul_f32 v253, 0xbe3c28d5, v177
	scratch_store_b32 off, v54, off offset:52 ; 4-byte Folded Spill
	v_add_f32_e32 v54, v48, v196
	v_add_f32_e32 v48, v48, v74
	v_mul_f32_e32 v74, 0xbf4c4adb, v220
	s_clause 0x1
	scratch_store_b32 off, v52, off offset:56
	scratch_store_b32 off, v49, off offset:36
	v_add_f32_e32 v49, v122, v51
	scratch_store_b32 off, v48, off offset:32 ; 4-byte Folded Spill
	v_add_f32_e32 v48, v121, v50
	v_fmamk_f32 v50, v158, 0xbf1a4643, v74
	v_mul_f32_e32 v121, 0x3e3c28d5, v155
	v_mul_f32_e32 v122, 0x3f763a35, v157
	v_fmamk_f32 v53, v162, 0xbe8c1d8e, v55
	v_mov_b32_e32 v147, v238
	v_add_f32_e32 v50, v50, v65
	v_fmamk_f32 v51, v162, 0xbf7ba420, v121
	v_dual_mul_f32 v233, 0xbf65296c, v157 :: v_dual_mov_b32 v196, v167
	v_dual_mov_b32 v167, v242 :: v_dual_mul_f32 v238, 0xbeb8f4ab, v218
	s_delay_alu instid0(VALU_DEP_3)
	v_dual_add_f32 v50, v51, v50 :: v_dual_fmamk_f32 v51, v166, 0xbe8c1d8e, v122
	v_mul_f32_e32 v242, 0xbf4c4adb, v168
	v_mul_f32_e32 v252, 0xbf2c7751, v175
	;; [unrolled: 1-line block ×3, first 2 shown]
	v_dual_mul_f32 v254, 0x3f65296c, v168 :: v_dual_mul_f32 v123, 0x3f65296c, v134
	v_add_f32_e32 v50, v51, v50
	v_fma_f32 v51, 0xbf1a4643, v152, -v208
	v_mul_f32_e32 v126, 0xbe3c28d5, v163
	v_mul_f32_e32 v132, 0x3f2c7751, v177
	;; [unrolled: 1-line block ×3, first 2 shown]
	s_delay_alu instid0(VALU_DEP_4)
	v_dual_mul_f32 v66, 0xbf06c442, v155 :: v_dual_add_f32 v51, v51, v194
	v_mul_f32_e32 v194, 0x3f2c7751, v160
	scratch_store_b32 off, v80, off offset:12 ; 4-byte Folded Spill
	v_fma_f32 v68, 0x3dbcf732, v162, -v68
	v_mul_f32_e32 v217, 0xbf06c442, v178
	v_mul_f32_e32 v221, 0xbe3c28d5, v134
	v_fmamk_f32 v52, v170, 0x3f3d2fb0, v194
	v_mul_f32_e32 v225, 0x3f4c4adb, v218
	v_mul_f32_e32 v227, 0xbf06c442, v175
	v_mul_f32_e32 v231, 0x3f06c442, v220
	s_delay_alu instid0(VALU_DEP_4) | instskip(SKIP_4) | instid1(VALU_DEP_4)
	v_dual_mul_f32 v239, 0xbe3c28d5, v173 :: v_dual_add_f32 v50, v52, v50
	v_fma_f32 v52, 0xbf7ba420, v154, -v209
	v_fmac_f32_e32 v209, 0xbf7ba420, v154
	v_dual_mov_b32 v207, v244 :: v_dual_mul_f32 v244, 0xbeb8f4ab, v155
	v_mul_f32_e32 v247, 0xbeb8f4ab, v169
	v_add_f32_e32 v51, v52, v51
	v_fmamk_f32 v52, v172, 0x3f6eb680, v210
	s_clause 0x1
	scratch_store_b32 off, v54, off offset:48
	scratch_store_b64 off, v[48:49], off offset:24
	v_mul_f32_e32 v54, 0x3eb8f4ab, v157
	v_mov_b32_e32 v48, v179
	v_add_f32_e32 v50, v52, v50
	v_fma_f32 v52, 0xbe8c1d8e, v156, -v211
	v_dual_mov_b32 v179, v130 :: v_dual_mul_f32 v130, 0xbeb8f4ab, v173
	s_clause 0x3
	scratch_store_b32 off, v140, off offset:4
	scratch_store_b32 off, v136, off offset:8
	;; [unrolled: 1-line block ×4, first 2 shown]
	v_add_f32_e32 v51, v52, v51
	v_dual_fmamk_f32 v52, v176, 0x3dbcf732, v212 :: v_dual_mov_b32 v205, v243
	v_mul_f32_e32 v243, 0xbf4c4adb, v178
	v_mul_f32_e32 v241, 0xbeb8f4ab, v177
	s_delay_alu instid0(VALU_DEP_3)
	v_dual_mul_f32 v245, 0xbf06c442, v157 :: v_dual_add_f32 v50, v52, v50
	v_fma_f32 v52, 0x3f3d2fb0, v159, -v213
	v_mul_f32_e32 v255, 0x3f65296c, v178
	v_mul_f32_e32 v251, 0x3f7ee86f, v173
	v_mov_b32_e32 v49, v181
	v_mov_b32_e32 v191, v146
	v_add_f32_e32 v51, v52, v51
	v_fma_f32 v52, 0x3f6eb680, v161, -v214
	v_dual_mul_f32 v146, 0x3f2c7751, v218 :: v_dual_mov_b32 v181, v131
	v_mul_f32_e32 v131, 0xbe3c28d5, v175
	v_mov_b32_e32 v153, v180
	s_delay_alu instid0(VALU_DEP_4) | instskip(SKIP_3) | instid1(VALU_DEP_3)
	v_add_f32_e32 v51, v52, v51
	v_fma_f32 v52, 0x3dbcf732, v164, -v215
	v_dual_mov_b32 v180, v175 :: v_dual_mul_f32 v65, 0x3eb8f4ab, v220
	v_dual_mov_b32 v80, v151 :: v_dual_mov_b32 v151, v135
	v_dual_add_f32 v52, v52, v51 :: v_dual_fmamk_f32 v51, v174, 0xbf59a7d5, v216
	v_fmamk_f32 v64, v162, 0xbf59a7d5, v66
	v_fma_f32 v66, 0xbf59a7d5, v162, -v66
	v_dual_mov_b32 v184, v139 :: v_dual_mov_b32 v187, v142
	s_delay_alu instid0(VALU_DEP_4) | instskip(SKIP_4) | instid1(VALU_DEP_4)
	v_add_f32_e32 v201, v51, v50
	v_fma_f32 v50, 0xbf59a7d5, v165, -v217
	v_mov_b32_e32 v51, v183
	v_mov_b32_e32 v183, v149
	v_dual_mov_b32 v149, v240 :: v_dual_mul_f32 v240, 0x3f7ee86f, v175
	v_add_f32_e32 v200, v50, v52
	v_fmamk_f32 v52, v158, 0xbf7ba420, v56
	v_mov_b32_e32 v50, v182
	v_dual_mov_b32 v182, v127 :: v_dual_mul_f32 v127, 0x3f4c4adb, v171
	s_delay_alu instid0(VALU_DEP_3) | instskip(SKIP_2) | instid1(VALU_DEP_3)
	v_dual_mov_b32 v175, v171 :: v_dual_add_f32 v52, v52, v63
	v_dual_mov_b32 v171, v134 :: v_dual_mul_f32 v134, 0xbf763a35, v178
	v_mov_b32_e32 v189, v144
	v_dual_fmac_f32 v213, 0x3f3d2fb0, v159 :: v_dual_add_f32 v52, v53, v52
	v_fmamk_f32 v53, v166, 0x3f6eb680, v54
	s_delay_alu instid0(VALU_DEP_1) | instskip(SKIP_2) | instid1(VALU_DEP_2)
	v_dual_mul_f32 v135, 0x3eb8f4ab, v171 :: v_dual_add_f32 v52, v53, v52
	v_fma_f32 v53, 0xbf7ba420, v152, -v221
	v_fmac_f32_e32 v221, 0xbf7ba420, v152
	v_add_f32_e32 v53, v53, v79
	v_mul_f32_e32 v79, 0xbf65296c, v160
	v_fmac_f32_e32 v208, 0xbf1a4643, v152
	s_delay_alu instid0(VALU_DEP_2) | instskip(SKIP_1) | instid1(VALU_DEP_2)
	v_fmamk_f32 v57, v170, 0x3ee437d1, v79
	v_fma_f32 v79, 0x3ee437d1, v170, -v79
	v_add_f32_e32 v52, v57, v52
	v_fma_f32 v57, 0xbe8c1d8e, v154, -v222
	s_delay_alu instid0(VALU_DEP_1) | instskip(SKIP_1) | instid1(VALU_DEP_1)
	v_dual_fmac_f32 v222, 0xbe8c1d8e, v154 :: v_dual_add_f32 v53, v57, v53
	v_fmamk_f32 v57, v172, 0xbf59a7d5, v223
	v_add_f32_e32 v52, v57, v52
	v_fma_f32 v57, 0x3f6eb680, v156, -v224
	s_delay_alu instid0(VALU_DEP_1) | instskip(SKIP_1) | instid1(VALU_DEP_1)
	v_add_f32_e32 v53, v57, v53
	v_fmamk_f32 v57, v176, 0xbf1a4643, v225
	v_add_f32_e32 v52, v57, v52
	v_fma_f32 v57, 0x3ee437d1, v159, -v226
	s_delay_alu instid0(VALU_DEP_1) | instskip(SKIP_1) | instid1(VALU_DEP_1)
	v_dual_fmac_f32 v226, 0x3ee437d1, v159 :: v_dual_add_f32 v53, v57, v53
	v_fma_f32 v57, 0xbf59a7d5, v161, -v227
	v_add_f32_e32 v53, v57, v53
	v_fma_f32 v57, 0xbf1a4643, v164, -v228
	v_fmac_f32_e32 v228, 0xbf1a4643, v164
	v_fmac_f32_e32 v227, 0xbf59a7d5, v161
	s_delay_alu instid0(VALU_DEP_3) | instskip(SKIP_1) | instid1(VALU_DEP_1)
	v_add_f32_e32 v57, v57, v53
	v_fmamk_f32 v53, v174, 0x3f3d2fb0, v229
	v_add_f32_e32 v53, v53, v52
	v_fma_f32 v52, 0x3f3d2fb0, v165, -v230
	v_fmac_f32_e32 v230, 0x3f3d2fb0, v165
	s_delay_alu instid0(VALU_DEP_2) | instskip(NEXT) | instid1(VALU_DEP_1)
	v_dual_add_f32 v52, v52, v57 :: v_dual_fmamk_f32 v57, v158, 0xbf59a7d5, v231
	v_add_f32_e32 v57, v57, v61
	s_delay_alu instid0(VALU_DEP_1) | instskip(SKIP_1) | instid1(VALU_DEP_1)
	v_add_f32_e32 v57, v58, v57
	v_fmamk_f32 v58, v166, 0x3ee437d1, v233
	v_add_f32_e32 v57, v58, v57
	v_fma_f32 v58, 0xbf59a7d5, v152, -v234
	v_fmac_f32_e32 v234, 0xbf59a7d5, v152
	v_fmac_f32_e32 v224, 0x3f6eb680, v156
	s_delay_alu instid0(VALU_DEP_3) | instskip(NEXT) | instid1(VALU_DEP_3)
	v_add_f32_e32 v58, v58, v78
	v_dual_mul_f32 v78, 0xbe3c28d5, v160 :: v_dual_add_f32 v71, v234, v71
	s_delay_alu instid0(VALU_DEP_1) | instskip(NEXT) | instid1(VALU_DEP_1)
	v_fmamk_f32 v60, v170, 0xbf7ba420, v78
	v_add_f32_e32 v57, v60, v57
	v_fma_f32 v60, 0x3f3d2fb0, v154, -v235
	v_fmac_f32_e32 v235, 0x3f3d2fb0, v154
	s_delay_alu instid0(VALU_DEP_2) | instskip(NEXT) | instid1(VALU_DEP_2)
	v_add_f32_e32 v58, v60, v58
	v_dual_fmamk_f32 v60, v172, 0x3dbcf732, v236 :: v_dual_add_f32 v71, v235, v71
	s_delay_alu instid0(VALU_DEP_1) | instskip(SKIP_1) | instid1(VALU_DEP_1)
	v_add_f32_e32 v57, v60, v57
	v_fma_f32 v60, 0x3ee437d1, v156, -v237
	v_dual_fmac_f32 v237, 0x3ee437d1, v156 :: v_dual_add_f32 v58, v60, v58
	s_delay_alu instid0(VALU_DEP_1) | instskip(NEXT) | instid1(VALU_DEP_1)
	v_dual_fmamk_f32 v60, v176, 0x3f6eb680, v238 :: v_dual_add_f32 v71, v237, v71
	v_add_f32_e32 v57, v60, v57
	v_fma_f32 v60, 0xbf7ba420, v159, -v239
	s_delay_alu instid0(VALU_DEP_1) | instskip(SKIP_1) | instid1(VALU_DEP_2)
	v_dual_fmac_f32 v239, 0xbf7ba420, v159 :: v_dual_add_f32 v58, v60, v58
	v_fma_f32 v60, 0x3dbcf732, v161, -v240
	v_add_f32_e32 v71, v239, v71
	v_mov_b32_e32 v239, v148
	s_delay_alu instid0(VALU_DEP_3) | instskip(SKIP_1) | instid1(VALU_DEP_1)
	v_add_f32_e32 v58, v60, v58
	v_fma_f32 v60, 0x3f6eb680, v164, -v241
	v_add_f32_e32 v60, v60, v58
	v_fmamk_f32 v58, v174, 0xbf1a4643, v242
	s_delay_alu instid0(VALU_DEP_1) | instskip(SKIP_2) | instid1(VALU_DEP_2)
	v_add_f32_e32 v58, v58, v57
	v_fma_f32 v57, 0xbf1a4643, v165, -v243
	v_fmac_f32_e32 v243, 0xbf1a4643, v165
	v_dual_add_f32 v57, v57, v60 :: v_dual_fmamk_f32 v60, v158, 0xbe8c1d8e, v69
	v_fma_f32 v69, 0xbe8c1d8e, v158, -v69
	s_delay_alu instid0(VALU_DEP_2) | instskip(SKIP_2) | instid1(VALU_DEP_3)
	v_dual_add_f32 v59, v60, v59 :: v_dual_fmamk_f32 v60, v162, 0x3f6eb680, v244
	v_fmac_f32_e32 v241, 0x3f6eb680, v164
	v_fmac_f32_e32 v240, 0x3dbcf732, v161
	v_dual_mov_b32 v148, v193 :: v_dual_add_f32 v59, v60, v59
	s_delay_alu instid0(VALU_DEP_2) | instskip(SKIP_1) | instid1(VALU_DEP_2)
	v_dual_fmamk_f32 v60, v166, 0xbf59a7d5, v245 :: v_dual_add_f32 v71, v240, v71
	v_dual_mov_b32 v240, v149 :: v_dual_mov_b32 v149, v183
	v_add_f32_e32 v59, v60, v59
	v_fma_f32 v60, 0xbe8c1d8e, v152, -v246
	s_delay_alu instid0(VALU_DEP_4) | instskip(SKIP_1) | instid1(VALU_DEP_3)
	v_add_f32_e32 v71, v241, v71
	v_dual_mov_b32 v241, v150 :: v_dual_mov_b32 v150, v202
	v_dual_add_f32 v60, v60, v77 :: v_dual_mul_f32 v77, 0x3f7ee86f, v160
	s_delay_alu instid0(VALU_DEP_3) | instskip(SKIP_1) | instid1(VALU_DEP_3)
	v_add_f32_e32 v71, v243, v71
	v_mov_b32_e32 v243, v205
	v_fmamk_f32 v61, v170, 0x3dbcf732, v77
	s_delay_alu instid0(VALU_DEP_1) | instskip(SKIP_1) | instid1(VALU_DEP_1)
	v_add_f32_e32 v59, v61, v59
	v_fma_f32 v61, 0x3f6eb680, v154, -v247
	v_dual_fmac_f32 v247, 0x3f6eb680, v154 :: v_dual_add_f32 v60, v61, v60
	v_fmamk_f32 v61, v172, 0x3f3d2fb0, v248
	s_delay_alu instid0(VALU_DEP_1) | instskip(SKIP_2) | instid1(VALU_DEP_2)
	v_add_f32_e32 v59, v61, v59
	v_fma_f32 v61, 0xbf59a7d5, v156, -v249
	v_fmac_f32_e32 v249, 0xbf59a7d5, v156
	v_dual_add_f32 v60, v61, v60 :: v_dual_fmamk_f32 v61, v176, 0xbf7ba420, v250
	s_delay_alu instid0(VALU_DEP_1) | instskip(SKIP_1) | instid1(VALU_DEP_1)
	v_add_f32_e32 v59, v61, v59
	v_fma_f32 v61, 0x3dbcf732, v159, -v251
	v_dual_fmac_f32 v251, 0x3dbcf732, v159 :: v_dual_add_f32 v60, v61, v60
	v_fma_f32 v61, 0x3f3d2fb0, v161, -v252
	s_delay_alu instid0(VALU_DEP_1) | instskip(SKIP_2) | instid1(VALU_DEP_2)
	v_add_f32_e32 v60, v61, v60
	v_fma_f32 v61, 0xbf7ba420, v164, -v253
	v_fmac_f32_e32 v253, 0xbf7ba420, v164
	v_dual_add_f32 v61, v61, v60 :: v_dual_fmamk_f32 v60, v174, 0x3ee437d1, v254
	s_delay_alu instid0(VALU_DEP_1) | instskip(SKIP_2) | instid1(VALU_DEP_2)
	v_add_f32_e32 v60, v60, v59
	v_fma_f32 v59, 0x3ee437d1, v165, -v255
	v_fmac_f32_e32 v255, 0x3ee437d1, v165
	v_add_f32_e32 v59, v59, v61
	v_fmamk_f32 v61, v158, 0x3ee437d1, v67
	s_delay_alu instid0(VALU_DEP_1) | instskip(SKIP_1) | instid1(VALU_DEP_2)
	v_add_f32_e32 v61, v61, v195
	v_mul_f32_e32 v195, 0x3f4c4adb, v157
	v_add_f32_e32 v61, v62, v61
	s_delay_alu instid0(VALU_DEP_2) | instskip(NEXT) | instid1(VALU_DEP_1)
	v_fmamk_f32 v62, v166, 0xbf1a4643, v195
	v_add_f32_e32 v61, v62, v61
	v_fma_f32 v62, 0x3ee437d1, v152, -v123
	v_fmac_f32_e32 v123, 0x3ee437d1, v152
	v_fmac_f32_e32 v252, 0x3f3d2fb0, v161
	s_delay_alu instid0(VALU_DEP_3) | instskip(SKIP_1) | instid1(VALU_DEP_1)
	v_add_f32_e32 v62, v62, v76
	v_mul_f32_e32 v76, 0xbeb8f4ab, v160
	v_fmamk_f32 v63, v170, 0x3f6eb680, v76
	s_delay_alu instid0(VALU_DEP_1) | instskip(SKIP_2) | instid1(VALU_DEP_2)
	v_add_f32_e32 v61, v63, v61
	v_fma_f32 v63, 0x3dbcf732, v154, -v125
	v_fmac_f32_e32 v125, 0x3dbcf732, v154
	v_dual_add_f32 v62, v63, v62 :: v_dual_fmamk_f32 v63, v172, 0xbf7ba420, v126
	v_fma_f32 v67, 0x3ee437d1, v158, -v67
	s_delay_alu instid0(VALU_DEP_2) | instskip(SKIP_1) | instid1(VALU_DEP_1)
	v_add_f32_e32 v61, v63, v61
	v_fma_f32 v63, 0xbf1a4643, v156, -v127
	v_dual_add_f32 v62, v63, v62 :: v_dual_fmamk_f32 v63, v176, 0x3f3d2fb0, v146
	s_delay_alu instid0(VALU_DEP_1) | instskip(SKIP_1) | instid1(VALU_DEP_1)
	v_add_f32_e32 v61, v63, v61
	v_fma_f32 v63, 0x3f6eb680, v159, -v130
	v_add_f32_e32 v62, v63, v62
	v_fma_f32 v63, 0xbf7ba420, v161, -v131
	s_delay_alu instid0(VALU_DEP_1) | instskip(SKIP_1) | instid1(VALU_DEP_1)
	v_dual_fmac_f32 v131, 0xbf7ba420, v161 :: v_dual_add_f32 v62, v63, v62
	v_fma_f32 v63, 0x3f3d2fb0, v164, -v132
	v_dual_fmac_f32 v132, 0x3f3d2fb0, v164 :: v_dual_add_f32 v63, v63, v62
	v_fmamk_f32 v62, v174, 0xbe8c1d8e, v133
	v_fmac_f32_e32 v130, 0x3f6eb680, v159
	s_delay_alu instid0(VALU_DEP_2) | instskip(SKIP_1) | instid1(VALU_DEP_1)
	v_add_f32_e32 v62, v62, v61
	v_fma_f32 v61, 0xbe8c1d8e, v165, -v134
	v_add_f32_e32 v61, v61, v63
	v_dual_fmamk_f32 v63, v158, 0x3f6eb680, v65 :: v_dual_mov_b32 v186, v141
	v_fma_f32 v65, 0x3f6eb680, v158, -v65
	v_mov_b32_e32 v188, v143
	s_delay_alu instid0(VALU_DEP_3) | instskip(SKIP_1) | instid1(VALU_DEP_4)
	v_add_f32_e32 v63, v63, v197
	v_mul_f32_e32 v197, 0x3f2c7751, v157
	v_dual_add_f32 v65, v65, v198 :: v_dual_mul_f32 v144, 0x3f7ee86f, v168
	s_delay_alu instid0(VALU_DEP_3) | instskip(NEXT) | instid1(VALU_DEP_3)
	v_dual_fmac_f32 v134, 0xbe8c1d8e, v165 :: v_dual_add_f32 v63, v64, v63
	v_fmamk_f32 v64, v166, 0x3f3d2fb0, v197
	s_delay_alu instid0(VALU_DEP_3) | instskip(SKIP_1) | instid1(VALU_DEP_3)
	v_dual_add_f32 v65, v66, v65 :: v_dual_mov_b32 v190, v145
	v_mul_f32_e32 v145, 0x3f7ee86f, v178
	v_add_f32_e32 v63, v64, v63
	v_fma_f32 v64, 0x3f6eb680, v152, -v135
	s_delay_alu instid0(VALU_DEP_1) | instskip(NEXT) | instid1(VALU_DEP_1)
	v_dual_add_f32 v64, v64, v75 :: v_dual_mul_f32 v75, 0xbf4c4adb, v160
	v_fmamk_f32 v136, v170, 0xbf1a4643, v75
	s_delay_alu instid0(VALU_DEP_1) | instskip(NEXT) | instid1(VALU_DEP_1)
	v_dual_add_f32 v63, v136, v63 :: v_dual_mul_f32 v136, 0xbf06c442, v169
	v_fma_f32 v137, 0xbf59a7d5, v154, -v136
	s_delay_alu instid0(VALU_DEP_1) | instskip(SKIP_1) | instid1(VALU_DEP_2)
	v_dual_add_f32 v64, v137, v64 :: v_dual_mul_f32 v137, 0x3f65296c, v163
	v_fmac_f32_e32 v135, 0x3f6eb680, v152
	v_fmamk_f32 v138, v172, 0x3ee437d1, v137
	s_delay_alu instid0(VALU_DEP_2) | instskip(SKIP_1) | instid1(VALU_DEP_3)
	v_add_f32_e32 v66, v135, v70
	v_fma_f32 v70, 0x3f3d2fb0, v166, -v197
	v_add_f32_e32 v63, v138, v63
	s_delay_alu instid0(VALU_DEP_2) | instskip(SKIP_3) | instid1(VALU_DEP_4)
	v_dual_mul_f32 v138, 0x3f2c7751, v175 :: v_dual_add_f32 v65, v70, v65
	v_fma_f32 v70, 0xbf1a4643, v170, -v75
	v_fma_f32 v75, 0xbe8c1d8e, v166, -v122
	v_mul_f32_e32 v122, 0xbf1a4643, v162
	v_fma_f32 v139, 0x3f3d2fb0, v156, -v138
	s_delay_alu instid0(VALU_DEP_4) | instskip(SKIP_2) | instid1(VALU_DEP_4)
	v_add_f32_e32 v65, v70, v65
	v_fma_f32 v70, 0x3ee437d1, v172, -v137
	v_fmac_f32_e32 v136, 0xbf59a7d5, v154
	v_dual_add_f32 v64, v139, v64 :: v_dual_mul_f32 v139, 0xbf763a35, v218
	v_mul_f32_e32 v137, 0x3eb8f4ab, v178
	s_delay_alu instid0(VALU_DEP_2) | instskip(SKIP_3) | instid1(VALU_DEP_4)
	v_dual_add_f32 v65, v70, v65 :: v_dual_fmamk_f32 v140, v176, 0xbe8c1d8e, v139
	v_fma_f32 v70, 0xbe8c1d8e, v176, -v139
	v_add_f32_e32 v66, v136, v66
	v_fma_f32 v139, 0xbe8c1d8e, v162, -v55
	v_dual_add_f32 v63, v140, v63 :: v_dual_mul_f32 v140, 0xbf4c4adb, v173
	s_delay_alu instid0(VALU_DEP_4) | instskip(NEXT) | instid1(VALU_DEP_2)
	v_add_f32_e32 v65, v70, v65
	v_fma_f32 v141, 0xbf1a4643, v159, -v140
	s_delay_alu instid0(VALU_DEP_1) | instskip(SKIP_1) | instid1(VALU_DEP_1)
	v_add_f32_e32 v64, v141, v64
	v_mul_f32_e32 v141, 0x3f65296c, v180
	v_fma_f32 v142, 0x3ee437d1, v161, -v141
	s_delay_alu instid0(VALU_DEP_1) | instskip(SKIP_1) | instid1(VALU_DEP_1)
	v_dual_fmac_f32 v141, 0x3ee437d1, v161 :: v_dual_add_f32 v64, v142, v64
	v_mul_f32_e32 v142, 0xbf763a35, v177
	v_fma_f32 v143, 0xbe8c1d8e, v164, -v142
	s_delay_alu instid0(VALU_DEP_1) | instskip(SKIP_1) | instid1(VALU_DEP_2)
	v_dual_add_f32 v143, v143, v64 :: v_dual_fmamk_f32 v64, v174, 0x3dbcf732, v144
	v_fmac_f32_e32 v138, 0x3f3d2fb0, v156
	v_add_f32_e32 v64, v64, v63
	v_fma_f32 v63, 0x3dbcf732, v165, -v145
	s_delay_alu instid0(VALU_DEP_3) | instskip(SKIP_1) | instid1(VALU_DEP_3)
	v_dual_add_f32 v66, v138, v66 :: v_dual_fmac_f32 v145, 0x3dbcf732, v165
	v_fmac_f32_e32 v140, 0xbf1a4643, v159
	v_dual_mul_f32 v138, 0x3f6eb680, v174 :: v_dual_add_f32 v63, v63, v143
	v_dual_mov_b32 v143, v188 :: v_dual_fmac_f32 v142, 0xbe8c1d8e, v164
	s_delay_alu instid0(VALU_DEP_3) | instskip(NEXT) | instid1(VALU_DEP_1)
	v_add_f32_e32 v66, v140, v66
	v_dual_add_f32 v66, v141, v66 :: v_dual_mov_b32 v141, v186
	s_delay_alu instid0(VALU_DEP_1) | instskip(SKIP_1) | instid1(VALU_DEP_1)
	v_add_f32_e32 v70, v142, v66
	v_fma_f32 v66, 0x3dbcf732, v174, -v144
	v_dual_add_f32 v66, v66, v65 :: v_dual_add_f32 v65, v145, v70
	scratch_load_b32 v70, off, off offset:80 th:TH_LOAD_LU ; 4-byte Folded Reload
	v_mov_b32_e32 v145, v190
	s_wait_loadcnt 0x0
	v_add_f32_e32 v67, v67, v70
	v_fma_f32 v70, 0x3f3d2fb0, v176, -v146
	s_delay_alu instid0(VALU_DEP_2) | instskip(SKIP_1) | instid1(VALU_DEP_1)
	v_dual_mov_b32 v146, v191 :: v_dual_add_f32 v67, v68, v67
	v_fma_f32 v68, 0xbf1a4643, v166, -v195
	v_add_f32_e32 v67, v68, v67
	v_fma_f32 v68, 0x3f6eb680, v170, -v76
	v_mov_b32_e32 v142, v187
	s_delay_alu instid0(VALU_DEP_2) | instskip(SKIP_2) | instid1(VALU_DEP_3)
	v_dual_mul_f32 v76, 0x3f3d2fb0, v152 :: v_dual_add_f32 v67, v68, v67
	v_fma_f32 v68, 0xbf7ba420, v172, -v126
	v_mov_b32_e32 v144, v189
	v_add_f32_e32 v76, v76, v204
	s_delay_alu instid0(VALU_DEP_3) | instskip(SKIP_3) | instid1(VALU_DEP_4)
	v_dual_add_f32 v67, v68, v67 :: v_dual_add_f32 v68, v123, v72
	v_fma_f32 v72, 0xbf59a7d5, v166, -v245
	v_mov_b32_e32 v245, v206
	v_mul_f32_e32 v123, 0xbf7ee86f, v171
	v_dual_add_f32 v67, v70, v67 :: v_dual_add_f32 v68, v125, v68
	v_fmac_f32_e32 v127, 0xbf1a4643, v156
	s_delay_alu instid0(VALU_DEP_1) | instskip(NEXT) | instid1(VALU_DEP_1)
	v_dual_mul_f32 v125, 0xbf7ba420, v166 :: v_dual_add_f32 v68, v127, v68
	v_fmamk_f32 v126, v157, 0x3e3c28d5, v125
	s_delay_alu instid0(VALU_DEP_2) | instskip(NEXT) | instid1(VALU_DEP_1)
	v_add_f32_e32 v68, v130, v68
	v_add_f32_e32 v68, v131, v68
	s_delay_alu instid0(VALU_DEP_1) | instskip(SKIP_1) | instid1(VALU_DEP_1)
	v_add_f32_e32 v70, v132, v68
	v_fma_f32 v68, 0xbe8c1d8e, v174, -v133
	v_dual_add_f32 v68, v68, v67 :: v_dual_add_f32 v67, v134, v70
	scratch_load_b32 v70, off, off offset:76 th:TH_LOAD_LU ; 4-byte Folded Reload
	s_wait_loadcnt 0x0
	v_add_f32_e32 v69, v69, v70
	v_fma_f32 v70, 0x3f6eb680, v162, -v244
	s_delay_alu instid0(VALU_DEP_1) | instskip(NEXT) | instid1(VALU_DEP_1)
	v_add_f32_e32 v69, v70, v69
	v_add_f32_e32 v69, v72, v69
	v_fma_f32 v72, 0x3dbcf732, v170, -v77
	v_mov_b32_e32 v244, v207
	scratch_load_b32 v77, off, off offset:60 th:TH_LOAD_LU ; 4-byte Folded Reload
	v_add_f32_e32 v69, v72, v69
	v_fma_f32 v72, 0x3f3d2fb0, v172, -v248
	s_delay_alu instid0(VALU_DEP_1) | instskip(NEXT) | instid1(VALU_DEP_1)
	v_dual_fmac_f32 v246, 0xbe8c1d8e, v152 :: v_dual_add_f32 v69, v72, v69
	v_add_f32_e32 v70, v246, v73
	scratch_load_b32 v73, off, off offset:72 th:TH_LOAD_LU ; 4-byte Folded Reload
	v_fma_f32 v72, 0xbf7ba420, v176, -v250
	s_delay_alu instid0(VALU_DEP_1) | instskip(NEXT) | instid1(VALU_DEP_1)
	v_dual_add_f32 v70, v247, v70 :: v_dual_add_f32 v69, v72, v69
	v_add_f32_e32 v70, v249, v70
	s_delay_alu instid0(VALU_DEP_1) | instskip(NEXT) | instid1(VALU_DEP_1)
	v_add_f32_e32 v70, v251, v70
	v_add_f32_e32 v70, v252, v70
	s_delay_alu instid0(VALU_DEP_1) | instskip(SKIP_1) | instid1(VALU_DEP_1)
	v_add_f32_e32 v72, v253, v70
	v_fma_f32 v70, 0x3ee437d1, v174, -v254
	v_dual_add_f32 v70, v70, v69 :: v_dual_add_f32 v69, v255, v72
	v_fma_f32 v72, 0xbf59a7d5, v158, -v231
	s_wait_loadcnt 0x0
	s_delay_alu instid0(VALU_DEP_1) | instskip(SKIP_1) | instid1(VALU_DEP_1)
	v_add_f32_e32 v72, v72, v73
	v_fma_f32 v73, 0x3f3d2fb0, v162, -v232
	v_add_f32_e32 v72, v73, v72
	v_fma_f32 v73, 0x3ee437d1, v166, -v233
	s_delay_alu instid0(VALU_DEP_1)
	v_add_f32_e32 v72, v73, v72
	v_fma_f32 v73, 0xbf7ba420, v170, -v78
	scratch_load_b32 v78, off, off offset:56 th:TH_LOAD_LU ; 4-byte Folded Reload
	v_fmac_f32_e32 v215, 0x3dbcf732, v164
	v_fmac_f32_e32 v214, 0x3f6eb680, v161
	;; [unrolled: 1-line block ×3, first 2 shown]
	v_add_f32_e32 v72, v73, v72
	v_fma_f32 v73, 0x3dbcf732, v172, -v236
	s_delay_alu instid0(VALU_DEP_1) | instskip(SKIP_2) | instid1(VALU_DEP_2)
	v_add_f32_e32 v72, v73, v72
	v_fma_f32 v73, 0x3f6eb680, v176, -v238
	v_dual_mov_b32 v238, v147 :: v_dual_mov_b32 v147, v192
	v_add_f32_e32 v72, v73, v72
	v_fma_f32 v73, 0xbf1a4643, v174, -v242
	v_mov_b32_e32 v242, v167
	s_delay_alu instid0(VALU_DEP_2)
	v_add_f32_e32 v72, v73, v72
	v_fma_f32 v73, 0xbf1a4643, v158, -v74
	scratch_load_b32 v74, off, off offset:68 th:TH_LOAD_LU ; 4-byte Folded Reload
	s_wait_loadcnt 0x1
	v_add_f32_e32 v76, v76, v78
	v_mul_f32_e32 v78, 0x3ee437d1, v154
	s_delay_alu instid0(VALU_DEP_1) | instskip(NEXT) | instid1(VALU_DEP_1)
	v_add_f32_e32 v78, v78, v185
	v_dual_fmac_f32 v217, 0xbf59a7d5, v165 :: v_dual_add_f32 v76, v78, v76
	v_mul_f32_e32 v78, 0x3dbcf732, v156
	s_delay_alu instid0(VALU_DEP_1) | instskip(NEXT) | instid1(VALU_DEP_1)
	v_add_f32_e32 v78, v78, v179
	v_add_f32_e32 v76, v78, v76
	s_wait_loadcnt 0x0
	v_dual_mul_f32 v78, 0xbe8c1d8e, v159 :: v_dual_add_f32 v73, v73, v74
	v_fma_f32 v74, 0xbf7ba420, v162, -v121
	s_delay_alu instid0(VALU_DEP_2) | instskip(NEXT) | instid1(VALU_DEP_2)
	v_add_f32_e32 v78, v78, v199
	v_add_f32_e32 v73, v74, v73
	scratch_load_b32 v74, off, off offset:64 th:TH_LOAD_LU ; 4-byte Folded Reload
	v_add_f32_e32 v76, v78, v76
	v_mul_f32_e32 v78, 0xbf1a4643, v161
	s_delay_alu instid0(VALU_DEP_1) | instskip(SKIP_3) | instid1(VALU_DEP_1)
	v_add_f32_e32 v78, v78, v48
	scratch_load_b32 v48, off, off offset:52 th:TH_LOAD_LU ; 4-byte Folded Reload
	v_add_f32_e32 v76, v78, v76
	v_mul_f32_e32 v78, 0xbf59a7d5, v164
	v_add_f32_e32 v78, v78, v219
	s_delay_alu instid0(VALU_DEP_1) | instskip(SKIP_4) | instid1(VALU_DEP_2)
	v_add_f32_e32 v78, v78, v76
	v_mul_f32_e32 v76, 0xbf7ba420, v165
	s_wait_loadcnt 0x1
	v_dual_add_f32 v74, v208, v74 :: v_dual_add_f32 v73, v75, v73
	v_fma_f32 v75, 0x3f3d2fb0, v170, -v194
	v_add_f32_e32 v74, v209, v74
	s_delay_alu instid0(VALU_DEP_1) | instskip(NEXT) | instid1(VALU_DEP_3)
	v_add_f32_e32 v74, v211, v74
	v_add_f32_e32 v73, v75, v73
	v_fma_f32 v75, 0x3f6eb680, v172, -v210
	s_delay_alu instid0(VALU_DEP_1) | instskip(SKIP_1) | instid1(VALU_DEP_1)
	v_dual_add_f32 v74, v213, v74 :: v_dual_add_f32 v73, v75, v73
	v_fma_f32 v75, 0x3dbcf732, v176, -v212
	v_dual_add_f32 v74, v214, v74 :: v_dual_add_f32 v73, v75, v73
	s_delay_alu instid0(VALU_DEP_1) | instskip(SKIP_1) | instid1(VALU_DEP_1)
	v_add_f32_e32 v75, v215, v74
	v_fma_f32 v74, 0xbf59a7d5, v174, -v216
	v_dual_add_f32 v74, v74, v73 :: v_dual_add_f32 v73, v217, v75
	v_mul_f32_e32 v75, 0xbf2c7751, v220
	s_delay_alu instid0(VALU_DEP_1) | instskip(NEXT) | instid1(VALU_DEP_1)
	v_sub_f32_e32 v75, v203, v75
	v_add_f32_e32 v75, v75, v77
	v_mul_f32_e32 v77, 0xbf65296c, v155
	s_delay_alu instid0(VALU_DEP_1) | instskip(NEXT) | instid1(VALU_DEP_1)
	v_sub_f32_e32 v77, v182, v77
	v_add_f32_e32 v75, v77, v75
	v_mul_f32_e32 v77, 0xbf7ee86f, v157
	s_delay_alu instid0(VALU_DEP_1) | instskip(NEXT) | instid1(VALU_DEP_1)
	v_sub_f32_e32 v77, v181, v77
	v_add_f32_e32 v75, v77, v75
	v_mul_f32_e32 v77, 0xbf763a35, v160
	s_delay_alu instid0(VALU_DEP_1) | instskip(NEXT) | instid1(VALU_DEP_1)
	v_sub_f32_e32 v77, v196, v77
	v_add_f32_e32 v75, v77, v75
	v_mul_f32_e32 v77, 0xbf4c4adb, v163
	s_delay_alu instid0(VALU_DEP_1) | instskip(NEXT) | instid1(VALU_DEP_1)
	v_sub_f32_e32 v77, v153, v77
	v_add_f32_e32 v75, v77, v75
	v_mul_f32_e32 v77, 0xbf06c442, v218
	s_delay_alu instid0(VALU_DEP_1) | instskip(NEXT) | instid1(VALU_DEP_1)
	v_sub_f32_e32 v77, v49, v77
	v_add_f32_e32 v75, v77, v75
	v_mul_f32_e32 v77, 0xbe3c28d5, v168
	s_delay_alu instid0(VALU_DEP_1) | instskip(NEXT) | instid1(VALU_DEP_1)
	v_sub_f32_e32 v77, v51, v77
	v_dual_add_f32 v121, v76, v50 :: v_dual_add_f32 v76, v77, v75
	s_delay_alu instid0(VALU_DEP_1) | instskip(SKIP_3) | instid1(VALU_DEP_3)
	v_add_f32_e32 v75, v121, v78
	v_mul_f32_e32 v121, 0x3dbcf732, v158
	v_fmamk_f32 v78, v155, 0x3f4c4adb, v122
	v_fmac_f32_e32 v122, 0xbf4c4adb, v155
	v_fmamk_f32 v77, v220, 0x3f7ee86f, v121
	s_wait_loadcnt 0x0
	s_delay_alu instid0(VALU_DEP_1) | instskip(SKIP_2) | instid1(VALU_DEP_1)
	v_add_f32_e32 v77, v77, v48
	scratch_load_b32 v48, off, off offset:48 th:TH_LOAD_LU ; 4-byte Folded Reload
	v_dual_add_f32 v77, v78, v77 :: v_dual_fmamk_f32 v78, v152, 0x3dbcf732, v123
	v_add_f32_e32 v77, v126, v77
	v_mul_f32_e32 v126, 0xbf4c4adb, v169
	s_delay_alu instid0(VALU_DEP_1)
	v_fmamk_f32 v127, v154, 0xbf1a4643, v126
	s_wait_loadcnt 0x0
	v_add_f32_e32 v78, v78, v48
	scratch_load_b32 v48, off, off offset:44 th:TH_LOAD_LU ; 4-byte Folded Reload
	v_add_f32_e32 v78, v127, v78
	v_mul_f32_e32 v127, 0xbf59a7d5, v170
	s_delay_alu instid0(VALU_DEP_1) | instskip(NEXT) | instid1(VALU_DEP_1)
	v_fmamk_f32 v130, v160, 0xbf06c442, v127
	v_dual_add_f32 v77, v130, v77 :: v_dual_mul_f32 v130, 0xbe3c28d5, v175
	s_delay_alu instid0(VALU_DEP_1) | instskip(NEXT) | instid1(VALU_DEP_1)
	v_fmamk_f32 v131, v156, 0xbf7ba420, v130
	v_dual_add_f32 v78, v131, v78 :: v_dual_mul_f32 v131, 0xbe8c1d8e, v172
	s_delay_alu instid0(VALU_DEP_1) | instskip(NEXT) | instid1(VALU_DEP_1)
	v_fmamk_f32 v132, v163, 0xbf763a35, v131
	v_add_f32_e32 v77, v132, v77
	v_mul_f32_e32 v132, 0x3f06c442, v173
	s_delay_alu instid0(VALU_DEP_1) | instskip(NEXT) | instid1(VALU_DEP_1)
	v_fmamk_f32 v133, v159, 0xbf59a7d5, v132
	v_dual_add_f32 v78, v133, v78 :: v_dual_mul_f32 v133, 0x3ee437d1, v176
	v_fma_f32 v123, 0x3dbcf732, v152, -v123
	s_delay_alu instid0(VALU_DEP_2) | instskip(NEXT) | instid1(VALU_DEP_1)
	v_fmamk_f32 v134, v218, 0xbf65296c, v133
	v_dual_add_f32 v77, v134, v77 :: v_dual_mul_f32 v134, 0x3f763a35, v180
	s_delay_alu instid0(VALU_DEP_1) | instskip(NEXT) | instid1(VALU_DEP_1)
	v_fmamk_f32 v135, v161, 0xbe8c1d8e, v134
	v_dual_add_f32 v78, v135, v78 :: v_dual_mul_f32 v135, 0x3f65296c, v177
	s_delay_alu instid0(VALU_DEP_1) | instskip(NEXT) | instid1(VALU_DEP_1)
	v_fmamk_f32 v136, v164, 0x3ee437d1, v135
	v_add_f32_e32 v136, v136, v78
	v_fmamk_f32 v78, v168, 0xbeb8f4ab, v138
	v_fmac_f32_e32 v138, 0x3eb8f4ab, v168
	s_delay_alu instid0(VALU_DEP_2) | instskip(SKIP_2) | instid1(VALU_DEP_2)
	v_dual_fmac_f32 v133, 0x3f65296c, v218 :: v_dual_add_f32 v78, v78, v77
	v_fmamk_f32 v77, v165, 0x3f6eb680, v137
	v_fmac_f32_e32 v121, 0xbf7ee86f, v220
	v_add_f32_e32 v77, v77, v136
	v_fma_f32 v136, 0xbf7ba420, v158, -v56
	s_wait_loadcnt 0x0
	s_delay_alu instid0(VALU_DEP_1) | instskip(SKIP_3) | instid1(VALU_DEP_1)
	v_add_f32_e32 v136, v136, v48
	scratch_load_b32 v48, off, off offset:40 th:TH_LOAD_LU ; 4-byte Folded Reload
	v_add_f32_e32 v136, v139, v136
	v_fma_f32 v139, 0x3f6eb680, v166, -v54
	v_dual_add_f32 v136, v139, v136 :: v_dual_mov_b32 v139, v184
	s_delay_alu instid0(VALU_DEP_1)
	v_add_f32_e32 v79, v79, v136
	v_fma_f32 v136, 0xbf59a7d5, v172, -v223
	s_wait_loadcnt 0x0
	v_add_f32_e32 v56, v221, v48
	scratch_load_b32 v48, off, off offset:36 th:TH_LOAD_LU ; 4-byte Folded Reload
	s_wait_loadcnt 0x0
	v_add_f32_e32 v55, v121, v48
	scratch_load_b32 v48, off, off offset:32 th:TH_LOAD_LU ; 4-byte Folded Reload
	v_fma_f32 v121, 0xbf1a4643, v154, -v126
	v_add_f32_e32 v56, v222, v56
	v_add_f32_e32 v55, v122, v55
	v_mul_lo_u16 v122, v128, 17
	s_delay_alu instid0(VALU_DEP_3) | instskip(NEXT) | instid1(VALU_DEP_2)
	v_add_f32_e32 v56, v224, v56
	v_and_b32_e32 v122, 0xffff, v122
	s_delay_alu instid0(VALU_DEP_1) | instskip(SKIP_3) | instid1(VALU_DEP_2)
	v_lshlrev_b32_e32 v126, 3, v122
	s_wait_loadcnt 0x0
	v_dual_add_f32 v54, v123, v48 :: v_dual_add_f32 v79, v136, v79
	v_fma_f32 v136, 0xbf1a4643, v176, -v225
	v_add_f32_e32 v54, v121, v54
	v_fma_f32 v121, 0xbf7ba420, v156, -v130
	s_delay_alu instid0(VALU_DEP_1) | instskip(SKIP_1) | instid1(VALU_DEP_1)
	v_add_f32_e32 v54, v121, v54
	v_fma_f32 v121, 0xbf59a7d5, v159, -v132
	v_dual_fmac_f32 v125, 0xbe3c28d5, v157 :: v_dual_add_f32 v54, v121, v54
	v_fma_f32 v121, 0xbe8c1d8e, v161, -v134
	s_delay_alu instid0(VALU_DEP_2)
	v_add_f32_e32 v55, v125, v55
	v_fmac_f32_e32 v127, 0x3f06c442, v160
	v_fma_f32 v125, 0x3f6eb680, v165, -v137
	scratch_load_b32 v137, off, off offset:20 ; 4-byte Folded Reload
	v_add_f32_e32 v54, v121, v54
	v_fma_f32 v121, 0x3ee437d1, v164, -v135
	v_dual_mov_b32 v135, v151 :: v_dual_add_f32 v56, v226, v56
	v_add_f32_e32 v79, v136, v79
	v_add_f32_e32 v55, v127, v55
	v_mov_b32_e32 v151, v80
	s_delay_alu instid0(VALU_DEP_4) | instskip(SKIP_3) | instid1(VALU_DEP_1)
	v_dual_add_f32 v121, v121, v54 :: v_dual_add_f32 v56, v227, v56
	v_fma_f32 v136, 0x3f3d2fb0, v174, -v229
	scratch_load_b32 v80, off, off offset:12 ; 4-byte Folded Reload
	v_dual_add_f32 v121, v125, v121 :: v_dual_add_f32 v56, v228, v56
	v_dual_fmac_f32 v131, 0x3f763a35, v163 :: v_dual_add_f32 v54, v230, v56
	s_delay_alu instid0(VALU_DEP_1) | instskip(NEXT) | instid1(VALU_DEP_1)
	v_add_f32_e32 v55, v131, v55
	v_add_f32_e32 v123, v133, v55
	v_add_f32_e32 v55, v136, v79
	s_clause 0x2
	scratch_load_b32 v136, off, off offset:8
	scratch_load_b32 v140, off, off offset:4
	scratch_load_b64 v[48:49], off, off offset:24 th:TH_LOAD_LU
	v_add_f32_e32 v122, v138, v123
	scratch_load_b32 v138, off, off offset:16 ; 4-byte Folded Reload
	s_wait_loadcnt 0x1
	ds_store_2addr_b64 v126, v[48:49], v[75:76] offset1:1
	ds_store_2addr_b64 v126, v[77:78], v[73:74] offset0:2 offset1:3
	ds_store_2addr_b64 v126, v[54:55], v[71:72] offset0:4 offset1:5
	;; [unrolled: 1-line block ×7, first 2 shown]
	ds_store_b64 v126, v[119:120] offset:128
.LBB0_17:
	s_wait_alu 0xfffe
	s_or_b32 exec_lo, exec_lo, s1
	v_add_nc_u32_e32 v121, 0x1800, v129
	v_add_nc_u32_e32 v122, 0x1c00, v129
	global_wb scope:SCOPE_SE
	s_wait_storecnt 0x0
	s_wait_loadcnt_dscnt 0x0
	s_barrier_signal -1
	s_barrier_wait -1
	global_inv scope:SCOPE_SE
	ds_load_2addr_b64 v[48:51], v121 offset0:48 offset1:150
	ds_load_2addr_b64 v[52:55], v122 offset0:124 offset1:226
	ds_load_2addr_b64 v[56:59], v129 offset1:102
	v_add_nc_u32_e32 v123, 0x2400, v129
	v_add_nc_u32_e32 v125, 0x400, v129
	;; [unrolled: 1-line block ×4, first 2 shown]
	s_wait_dscnt 0x1
	v_dual_mul_f32 v132, v94, v51 :: v_dual_mul_f32 v133, v96, v53
	v_mul_f32_e32 v94, v94, v50
	v_mul_f32_e32 v96, v96, v52
	v_dual_mul_f32 v131, v92, v49 :: v_dual_mul_f32 v134, v90, v55
	s_delay_alu instid0(VALU_DEP_4)
	v_fmac_f32_e32 v132, v93, v50
	v_dual_fmac_f32 v133, v95, v52 :: v_dual_add_nc_u32 v126, 0x800, v129
	ds_load_2addr_b64 v[60:63], v123 offset0:72 offset1:174
	ds_load_2addr_b64 v[64:67], v125 offset0:76 offset1:178
	;; [unrolled: 1-line block ×5, first 2 shown]
	v_mul_f32_e32 v92, v92, v48
	v_dual_fmac_f32 v131, v91, v48 :: v_dual_mul_f32 v48, v90, v54
	v_fma_f32 v51, v93, v51, -v94
	v_fmac_f32_e32 v134, v89, v54
	s_delay_alu instid0(VALU_DEP_4)
	v_fma_f32 v49, v91, v49, -v92
	v_fma_f32 v91, v95, v53, -v96
	;; [unrolled: 1-line block ×3, first 2 shown]
	s_wait_dscnt 0x5
	v_sub_f32_e32 v53, v59, v51
	global_wb scope:SCOPE_SE
	s_wait_dscnt 0x0
	s_barrier_signal -1
	s_barrier_wait -1
	v_sub_f32_e32 v49, v57, v49
	global_inv scope:SCOPE_SE
	v_dual_mul_f32 v90, v88, v61 :: v_dual_sub_f32 v55, v65, v91
	v_mul_f32_e32 v50, v88, v60
	v_mul_f32_e32 v88, v86, v63
	;; [unrolled: 1-line block ×4, first 2 shown]
	v_sub_f32_e32 v54, v64, v133
	v_fma_f32 v86, v87, v61, -v50
	v_dual_fmac_f32 v90, v87, v60 :: v_dual_mul_f32 v87, v84, v77
	v_mul_f32_e32 v50, v84, v76
	v_mul_f32_e32 v84, v82, v79
	v_fma_f32 v79, v81, v79, -v52
	v_dual_sub_f32 v61, v67, v89 :: v_dual_fmac_f32 v88, v85, v62
	v_fma_f32 v85, v85, v63, -v48
	v_sub_f32_e32 v48, v56, v131
	v_sub_f32_e32 v52, v58, v132
	v_fma_f32 v77, v83, v77, -v50
	v_fma_f32 v51, v57, 2.0, -v49
	v_fma_f32 v57, v59, 2.0, -v53
	;; [unrolled: 1-line block ×6, first 2 shown]
	ds_store_2addr_b64 v135, v[50:51], v[48:49] offset1:17
	ds_store_2addr_b64 v138, v[56:57], v[52:53] offset1:17
	;; [unrolled: 1-line block ×3, first 2 shown]
	scratch_load_b32 v48, off, off th:TH_LOAD_LU ; 4-byte Folded Reload
	v_dual_sub_f32 v60, v66, v134 :: v_dual_fmac_f32 v87, v83, v76
	v_fmac_f32_e32 v84, v81, v78
	v_sub_f32_e32 v63, v69, v86
	v_sub_f32_e32 v62, v68, v90
	s_delay_alu instid0(VALU_DEP_4)
	v_fma_f32 v64, v66, 2.0, -v60
	v_fma_f32 v65, v67, 2.0, -v61
	v_sub_f32_e32 v67, v71, v85
	v_dual_sub_f32 v79, v75, v79 :: v_dual_sub_f32 v66, v70, v88
	v_dual_sub_f32 v76, v72, v87 :: v_dual_sub_f32 v77, v73, v77
	v_sub_f32_e32 v78, v74, v84
	v_fma_f32 v68, v68, 2.0, -v62
	v_fma_f32 v69, v69, 2.0, -v63
	;; [unrolled: 1-line block ×8, first 2 shown]
	s_wait_loadcnt 0x0
	ds_store_2addr_b64 v48, v[64:65], v[60:61] offset1:17
	ds_store_2addr_b64 v139, v[68:69], v[62:63] offset1:17
	;; [unrolled: 1-line block ×5, first 2 shown]
	global_wb scope:SCOPE_SE
	s_wait_dscnt 0x0
	s_barrier_signal -1
	s_barrier_wait -1
	global_inv scope:SCOPE_SE
	ds_load_2addr_b64 v[48:51], v121 offset0:48 offset1:150
	ds_load_2addr_b64 v[52:55], v122 offset0:124 offset1:226
	ds_load_2addr_b64 v[56:59], v129 offset1:102
	ds_load_2addr_b64 v[60:63], v123 offset0:72 offset1:174
	ds_load_2addr_b64 v[64:67], v125 offset0:76 offset1:178
	ds_load_2addr_b64 v[68:71], v126 offset0:152 offset1:254
	ds_load_2addr_b64 v[72:75], v127 offset0:100 offset1:202
	ds_load_2addr_b64 v[76:79], v130 offset0:148 offset1:250
	global_wb scope:SCOPE_SE
	s_wait_dscnt 0x0
	s_barrier_signal -1
	s_barrier_wait -1
	global_inv scope:SCOPE_SE
	v_mul_f32_e32 v81, v112, v49
	v_mul_f32_e32 v83, v108, v51
	;; [unrolled: 1-line block ×5, first 2 shown]
	v_dual_fmac_f32 v81, v111, v48 :: v_dual_mul_f32 v48, v108, v50
	v_dual_fmac_f32 v83, v107, v50 :: v_dual_mul_f32 v50, v104, v60
	v_mul_f32_e32 v90, v100, v77
	v_fma_f32 v84, v109, v53, -v84
	s_delay_alu instid0(VALU_DEP_4) | instskip(SKIP_4) | instid1(VALU_DEP_4)
	v_fma_f32 v51, v107, v51, -v48
	v_mul_f32_e32 v85, v106, v55
	v_fma_f32 v89, v103, v61, -v50
	v_mul_f32_e32 v50, v100, v76
	v_fmac_f32_e32 v90, v99, v76
	v_dual_mul_f32 v86, v104, v61 :: v_dual_fmac_f32 v85, v105, v54
	v_mul_f32_e32 v92, v98, v79
	s_delay_alu instid0(VALU_DEP_4) | instskip(SKIP_1) | instid1(VALU_DEP_4)
	v_fma_f32 v76, v99, v77, -v50
	v_mul_f32_e32 v48, v106, v54
	v_dual_fmac_f32 v86, v103, v60 :: v_dual_fmac_f32 v87, v101, v62
	s_delay_alu instid0(VALU_DEP_4) | instskip(SKIP_1) | instid1(VALU_DEP_4)
	v_fmac_f32_e32 v92, v97, v78
	v_sub_f32_e32 v60, v66, v85
	v_fma_f32 v88, v105, v55, -v48
	v_dual_mul_f32 v48, v102, v62 :: v_dual_sub_f32 v55, v65, v84
	s_delay_alu instid0(VALU_DEP_2) | instskip(NEXT) | instid1(VALU_DEP_2)
	v_dual_sub_f32 v62, v68, v86 :: v_dual_sub_f32 v61, v67, v88
	v_fma_f32 v91, v101, v63, -v48
	v_sub_f32_e32 v63, v69, v89
	v_fma_f32 v49, v111, v49, -v82
	v_dual_mul_f32 v82, v110, v53 :: v_dual_sub_f32 v53, v59, v51
	v_sub_f32_e32 v48, v56, v81
	v_fma_f32 v68, v68, 2.0, -v62
	s_delay_alu instid0(VALU_DEP_4) | instskip(SKIP_1) | instid1(VALU_DEP_4)
	v_sub_f32_e32 v49, v57, v49
	v_fma_f32 v69, v69, 2.0, -v63
	v_fma_f32 v50, v56, 2.0, -v48
	s_delay_alu instid0(VALU_DEP_3)
	v_fma_f32 v51, v57, 2.0, -v49
	v_fma_f32 v57, v59, 2.0, -v53
	;; [unrolled: 1-line block ×4, first 2 shown]
	v_dual_sub_f32 v67, v71, v91 :: v_dual_fmac_f32 v82, v109, v52
	v_mul_f32_e32 v52, v98, v78
	v_sub_f32_e32 v78, v72, v90
	s_delay_alu instid0(VALU_DEP_3) | instskip(NEXT) | instid1(VALU_DEP_4)
	v_fma_f32 v71, v71, 2.0, -v67
	v_sub_f32_e32 v54, v64, v82
	s_delay_alu instid0(VALU_DEP_4) | instskip(SKIP_3) | instid1(VALU_DEP_4)
	v_fma_f32 v77, v97, v79, -v52
	v_dual_sub_f32 v52, v58, v83 :: v_dual_sub_f32 v79, v73, v76
	v_sub_f32_e32 v76, v74, v92
	v_fma_f32 v72, v72, 2.0, -v78
	v_sub_f32_e32 v77, v75, v77
	s_delay_alu instid0(VALU_DEP_4)
	v_fma_f32 v56, v58, 2.0, -v52
	v_fma_f32 v58, v64, 2.0, -v54
	;; [unrolled: 1-line block ×3, first 2 shown]
	v_sub_f32_e32 v66, v70, v87
	v_fma_f32 v73, v73, 2.0, -v79
	v_fma_f32 v74, v74, 2.0, -v76
	;; [unrolled: 1-line block ×3, first 2 shown]
	s_delay_alu instid0(VALU_DEP_4)
	v_fma_f32 v70, v70, 2.0, -v66
	ds_store_2addr_b64 v146, v[50:51], v[48:49] offset1:34
	ds_store_2addr_b64 v147, v[56:57], v[52:53] offset1:34
	;; [unrolled: 1-line block ×8, first 2 shown]
	v_add_nc_u32_e32 v48, 0xc00, v129
	v_add_nc_u32_e32 v52, 0x2000, v129
	global_wb scope:SCOPE_SE
	s_wait_dscnt 0x0
	s_barrier_signal -1
	s_barrier_wait -1
	global_inv scope:SCOPE_SE
	ds_load_2addr_b64 v[56:59], v129 offset1:102
	ds_load_2addr_b64 v[48:51], v48 offset0:24 offset1:160
	ds_load_2addr_b64 v[72:75], v52 offset0:64 offset1:166
	;; [unrolled: 1-line block ×6, first 2 shown]
	ds_load_b64 v[78:79], v129 offset:11968
	s_and_saveexec_b32 s1, s0
	s_cbranch_execz .LBB0_19
; %bb.18:
	ds_load_b64 v[76:77], v129 offset:4080
	ds_load_b64 v[119:120], v129 offset:8432
	;; [unrolled: 1-line block ×3, first 2 shown]
.LBB0_19:
	s_wait_alu 0xfffe
	s_or_b32 exec_lo, exec_lo, s1
	s_wait_dscnt 0x5
	v_dual_mul_f32 v81, v13, v51 :: v_dual_mul_f32 v82, v15, v73
	v_mul_f32_e32 v13, v13, v50
	v_mul_f32_e32 v15, v15, v72
	global_wb scope:SCOPE_SE
	s_wait_dscnt 0x0
	v_dual_fmac_f32 v81, v12, v50 :: v_dual_fmac_f32 v82, v14, v72
	v_fma_f32 v12, v12, v51, -v13
	v_mul_f32_e32 v50, v9, v61
	v_fma_f32 v14, v14, v73, -v15
	v_mul_f32_e32 v9, v9, v60
	v_mul_f32_e32 v13, v21, v69
	s_delay_alu instid0(VALU_DEP_4) | instskip(SKIP_1) | instid1(VALU_DEP_4)
	v_dual_mul_f32 v15, v23, v75 :: v_dual_fmac_f32 v50, v8, v60
	v_mul_f32_e32 v51, v11, v67
	v_fma_f32 v60, v8, v61, -v9
	v_sub_f32_e32 v9, v12, v14
	v_mul_f32_e32 v23, v23, v74
	v_fmac_f32_e32 v15, v22, v74
	v_mul_f32_e32 v61, v5, v63
	s_barrier_signal -1
	s_barrier_wait -1
	v_fma_f32 v22, v22, v75, -v23
	v_mul_f32_e32 v23, v19, v65
	v_mul_f32_e32 v19, v19, v64
	global_inv scope:SCOPE_SE
	v_fmac_f32_e32 v23, v18, v64
	v_mul_f32_e32 v11, v11, v66
	v_mul_f32_e32 v5, v5, v62
	v_fma_f32 v19, v18, v65, -v19
	v_fmac_f32_e32 v51, v10, v66
	v_mul_f32_e32 v65, v7, v79
	v_fma_f32 v64, v10, v67, -v11
	v_fmac_f32_e32 v61, v4, v62
	v_mul_f32_e32 v7, v7, v78
	v_fma_f32 v62, v4, v63, -v5
	v_add_f32_e32 v10, v57, v12
	v_dual_add_f32 v4, v81, v82 :: v_dual_add_f32 v5, v56, v81
	v_fmac_f32_e32 v13, v20, v68
	v_fma_f32 v63, v6, v79, -v7
	v_add_f32_e32 v7, v12, v14
	s_delay_alu instid0(VALU_DEP_4)
	v_fma_f32 v4, -0.5, v4, v56
	v_mul_f32_e32 v21, v21, v68
	v_fmac_f32_e32 v65, v6, v78
	v_add_f32_e32 v6, v5, v82
	v_fma_f32 v5, -0.5, v7, v57
	v_sub_f32_e32 v11, v81, v82
	v_fmamk_f32 v8, v9, 0xbf5db3d7, v4
	v_fmac_f32_e32 v4, 0x3f5db3d7, v9
	v_fma_f32 v20, v20, v69, -v21
	v_dual_mul_f32 v21, v17, v71 :: v_dual_add_f32 v12, v58, v13
	v_mul_f32_e32 v17, v17, v70
	v_add_f32_e32 v7, v10, v14
	v_fmamk_f32 v9, v11, 0x3f5db3d7, v5
	v_fmac_f32_e32 v5, 0xbf5db3d7, v11
	v_add_f32_e32 v11, v20, v22
	v_fma_f32 v17, v16, v71, -v17
	v_sub_f32_e32 v14, v20, v22
	v_dual_fmac_f32 v21, v16, v70 :: v_dual_add_f32 v16, v59, v20
	v_add_f32_e32 v10, v13, v15
	v_fmac_f32_e32 v59, -0.5, v11
	s_delay_alu instid0(VALU_DEP_3) | instskip(NEXT) | instid1(VALU_DEP_3)
	v_dual_sub_f32 v20, v17, v19 :: v_dual_add_f32 v11, v16, v22
	v_fma_f32 v58, -0.5, v10, v58
	v_add_f32_e32 v10, v12, v15
	v_dual_sub_f32 v15, v13, v15 :: v_dual_add_f32 v22, v54, v50
	s_delay_alu instid0(VALU_DEP_3) | instskip(SKIP_1) | instid1(VALU_DEP_3)
	v_fmamk_f32 v12, v14, 0xbf5db3d7, v58
	v_fmac_f32_e32 v58, 0x3f5db3d7, v14
	v_dual_add_f32 v14, v21, v23 :: v_dual_fmamk_f32 v13, v15, 0x3f5db3d7, v59
	v_fmac_f32_e32 v59, 0xbf5db3d7, v15
	v_dual_add_f32 v15, v17, v19 :: v_dual_add_f32 v16, v52, v21
	s_delay_alu instid0(VALU_DEP_3) | instskip(SKIP_2) | instid1(VALU_DEP_4)
	v_fma_f32 v14, -0.5, v14, v52
	v_add_f32_e32 v17, v53, v17
	v_sub_f32_e32 v21, v21, v23
	v_fma_f32 v15, -0.5, v15, v53
	v_add_f32_e32 v16, v16, v23
	v_fmamk_f32 v18, v20, 0xbf5db3d7, v14
	v_dual_fmac_f32 v14, 0x3f5db3d7, v20 :: v_dual_add_f32 v17, v17, v19
	s_delay_alu instid0(VALU_DEP_4) | instskip(SKIP_3) | instid1(VALU_DEP_4)
	v_dual_add_f32 v20, v50, v51 :: v_dual_fmamk_f32 v19, v21, 0x3f5db3d7, v15
	v_fmac_f32_e32 v15, 0xbf5db3d7, v21
	v_add_f32_e32 v21, v60, v64
	v_sub_f32_e32 v23, v60, v64
	v_fma_f32 v54, -0.5, v20, v54
	v_add_f32_e32 v52, v55, v60
	s_delay_alu instid0(VALU_DEP_4) | instskip(SKIP_1) | instid1(VALU_DEP_4)
	v_dual_sub_f32 v50, v50, v51 :: v_dual_fmac_f32 v55, -0.5, v21
	v_add_f32_e32 v20, v22, v51
	v_fmamk_f32 v22, v23, 0xbf5db3d7, v54
	v_dual_fmac_f32 v54, 0x3f5db3d7, v23 :: v_dual_add_f32 v51, v61, v65
	s_delay_alu instid0(VALU_DEP_4)
	v_fmamk_f32 v23, v50, 0x3f5db3d7, v55
	v_dual_fmac_f32 v55, 0xbf5db3d7, v50 :: v_dual_add_f32 v50, v62, v63
	v_add_f32_e32 v21, v52, v64
	v_add_f32_e32 v52, v48, v61
	v_fma_f32 v48, -0.5, v51, v48
	v_sub_f32_e32 v51, v62, v63
	v_add_f32_e32 v53, v49, v62
	v_dual_fmac_f32 v49, -0.5, v50 :: v_dual_sub_f32 v56, v61, v65
	v_add_f32_e32 v50, v52, v65
	s_delay_alu instid0(VALU_DEP_4)
	v_fmamk_f32 v52, v51, 0xbf5db3d7, v48
	v_fmac_f32_e32 v48, 0x3f5db3d7, v51
	v_add_f32_e32 v51, v53, v63
	v_fmamk_f32 v53, v56, 0x3f5db3d7, v49
	v_fmac_f32_e32 v49, 0xbf5db3d7, v56
	ds_store_2addr_b64 v243, v[6:7], v[8:9] offset1:68
	ds_store_b64 v243, v[4:5] offset:1088
	ds_store_2addr_b64 v245, v[10:11], v[12:13] offset1:68
	ds_store_b64 v245, v[58:59] offset:1088
	;; [unrolled: 2-line block ×5, first 2 shown]
	s_and_saveexec_b32 s1, s0
	s_cbranch_execz .LBB0_21
; %bb.20:
	v_dual_mul_f32 v4, v1, v119 :: v_dual_mul_f32 v5, v3, v117
	v_dual_mul_f32 v6, v1, v120 :: v_dual_mul_f32 v7, v3, v118
	s_delay_alu instid0(VALU_DEP_2) | instskip(NEXT) | instid1(VALU_DEP_3)
	v_fma_f32 v3, v0, v120, -v4
	v_fma_f32 v4, v2, v118, -v5
	s_delay_alu instid0(VALU_DEP_3) | instskip(NEXT) | instid1(VALU_DEP_3)
	v_dual_fmac_f32 v6, v0, v119 :: v_dual_fmac_f32 v7, v2, v117
	v_dual_add_f32 v5, v77, v3 :: v_dual_lshlrev_b32 v8, 3, v150
	s_delay_alu instid0(VALU_DEP_2) | instskip(SKIP_1) | instid1(VALU_DEP_2)
	v_dual_add_f32 v0, v3, v4 :: v_dual_sub_f32 v9, v6, v7
	v_add_f32_e32 v2, v6, v7
	v_fma_f32 v1, -0.5, v0, v77
	v_sub_f32_e32 v10, v3, v4
	v_add_f32_e32 v3, v5, v4
	s_delay_alu instid0(VALU_DEP_4) | instskip(NEXT) | instid1(VALU_DEP_4)
	v_fma_f32 v0, -0.5, v2, v76
	v_dual_add_f32 v2, v76, v6 :: v_dual_fmamk_f32 v5, v9, 0xbf5db3d7, v1
	v_fmac_f32_e32 v1, 0x3f5db3d7, v9
	v_add_nc_u32_e32 v6, 0x2800, v8
	s_delay_alu instid0(VALU_DEP_4) | instskip(NEXT) | instid1(VALU_DEP_4)
	v_fmamk_f32 v4, v10, 0x3f5db3d7, v0
	v_add_f32_e32 v2, v2, v7
	v_fmac_f32_e32 v0, 0xbf5db3d7, v10
	ds_store_2addr_b64 v6, v[2:3], v[0:1] offset0:148 offset1:216
	ds_store_b64 v8, v[4:5] offset:12512
.LBB0_21:
	s_wait_alu 0xfffe
	s_or_b32 exec_lo, exec_lo, s1
	v_add_nc_u32_e32 v56, 0x400, v129
	v_add_nc_u32_e32 v57, 0x800, v129
	v_add_nc_u32_e32 v58, 0x1000, v129
	v_add_nc_u32_e32 v59, 0x1800, v129
	global_wb scope:SCOPE_SE
	s_wait_dscnt 0x0
	s_barrier_signal -1
	s_barrier_wait -1
	global_inv scope:SCOPE_SE
	ds_load_2addr_b64 v[0:3], v56 offset0:76 offset1:178
	ds_load_2addr_b64 v[4:7], v57 offset0:152 offset1:254
	;; [unrolled: 1-line block ×4, first 2 shown]
	v_add_nc_u32_e32 v60, 0x1c00, v129
	s_wait_dscnt 0x1
	v_mul_f32_e32 v65, v37, v9
	v_mul_f32_e32 v63, v45, v1
	s_wait_dscnt 0x0
	v_mul_f32_e32 v66, v39, v13
	v_add_nc_u32_e32 v61, 0x2400, v129
	v_dual_mul_f32 v37, v37, v8 :: v_dual_add_nc_u32 v62, 0x2800, v129
	v_fmac_f32_e32 v63, v44, v0
	s_delay_alu instid0(VALU_DEP_4)
	v_fmac_f32_e32 v66, v38, v12
	ds_load_2addr_b64 v[16:19], v60 offset0:124 offset1:226
	ds_load_2addr_b64 v[20:23], v129 offset1:102
	ds_load_2addr_b64 v[48:51], v61 offset0:72 offset1:174
	ds_load_2addr_b64 v[52:55], v62 offset0:148 offset1:250
	v_dual_mul_f32 v64, v47, v5 :: v_dual_fmac_f32 v65, v36, v8
	v_mul_f32_e32 v45, v45, v0
	v_mul_f32_e32 v47, v47, v4
	s_delay_alu instid0(VALU_DEP_3) | instskip(SKIP_1) | instid1(VALU_DEP_4)
	v_fmac_f32_e32 v64, v46, v4
	v_mul_f32_e32 v4, v39, v12
	v_fma_f32 v0, v44, v1, -v45
	s_delay_alu instid0(VALU_DEP_4)
	v_fma_f32 v1, v46, v5, -v47
	v_fma_f32 v5, v36, v9, -v37
	v_mul_f32_e32 v36, v35, v15
	v_fma_f32 v4, v38, v13, -v4
	s_wait_dscnt 0x3
	v_mul_f32_e32 v8, v29, v17
	v_mul_f32_e32 v9, v29, v16
	s_wait_dscnt 0x1
	v_mul_f32_e32 v13, v31, v48
	v_dual_mul_f32 v12, v31, v49 :: v_dual_mul_f32 v29, v41, v2
	v_fmac_f32_e32 v8, v28, v16
	s_wait_dscnt 0x0
	v_mul_f32_e32 v16, v116, v53
	v_fma_f32 v9, v28, v17, -v9
	v_mul_f32_e32 v31, v33, v11
	v_mul_f32_e32 v28, v41, v3
	v_fma_f32 v13, v30, v49, -v13
	v_fmac_f32_e32 v16, v115, v52
	v_mul_f32_e32 v17, v116, v52
	v_fmac_f32_e32 v31, v32, v10
	v_fmac_f32_e32 v28, v40, v2
	v_mul_f32_e32 v2, v43, v6
	v_fmac_f32_e32 v12, v30, v48
	v_mul_f32_e32 v30, v43, v7
	v_fma_f32 v29, v40, v3, -v29
	v_mul_f32_e32 v3, v33, v10
	v_fma_f32 v33, v42, v7, -v2
	v_dual_mul_f32 v2, v35, v14 :: v_dual_sub_f32 v7, v1, v13
	v_dual_mul_f32 v35, v25, v19 :: v_dual_fmac_f32 v30, v42, v6
	s_delay_alu instid0(VALU_DEP_4) | instskip(SKIP_2) | instid1(VALU_DEP_4)
	v_fma_f32 v32, v32, v11, -v3
	v_mul_f32_e32 v3, v27, v50
	v_fma_f32 v17, v115, v53, -v17
	v_fmac_f32_e32 v35, v24, v18
	v_dual_fmac_f32 v36, v34, v14 :: v_dual_sub_f32 v9, v0, v9
	v_fma_f32 v14, v34, v15, -v2
	v_dual_mul_f32 v2, v25, v18 :: v_dual_mul_f32 v15, v27, v51
	v_mul_f32_e32 v18, v114, v55
	v_fma_f32 v1, v1, 2.0, -v7
	v_sub_f32_e32 v13, v65, v16
	s_delay_alu instid0(VALU_DEP_4)
	v_fma_f32 v19, v24, v19, -v2
	v_fmac_f32_e32 v15, v26, v50
	v_fma_f32 v24, v26, v51, -v3
	v_sub_f32_e32 v3, v21, v4
	v_sub_f32_e32 v4, v64, v12
	;; [unrolled: 1-line block ×4, first 2 shown]
	v_fma_f32 v0, v0, 2.0, -v9
	v_fma_f32 v10, v21, 2.0, -v3
	v_sub_f32_e32 v25, v3, v4
	v_fma_f32 v6, v20, 2.0, -v2
	v_fma_f32 v5, v5, 2.0, -v16
	v_sub_f32_e32 v26, v9, v13
	;; [unrolled: 3-line block ×3, first 2 shown]
	v_fma_f32 v1, v65, 2.0, -v13
	v_dual_sub_f32 v8, v63, v8 :: v_dual_sub_f32 v13, v0, v5
	v_fma_f32 v5, v9, 2.0, -v26
	v_dual_fmac_f32 v18, v113, v54 :: v_dual_add_f32 v21, v2, v7
	s_delay_alu instid0(VALU_DEP_3)
	v_fma_f32 v12, v63, 2.0, -v8
	v_sub_f32_e32 v17, v6, v11
	v_fma_f32 v3, v0, 2.0, -v13
	v_sub_f32_e32 v15, v30, v15
	v_sub_f32_e32 v19, v29, v19
	;; [unrolled: 1-line block ×3, first 2 shown]
	v_fmamk_f32 v1, v5, 0xbf3504f3, v27
	v_fma_f32 v7, v10, 2.0, -v20
	v_add_f32_e32 v16, v8, v16
	v_fma_f32 v10, v2, 2.0, -v21
	v_fma_f32 v6, v6, 2.0, -v17
	;; [unrolled: 1-line block ×3, first 2 shown]
	v_sub_f32_e32 v3, v7, v3
	v_fma_f32 v4, v8, 2.0, -v16
	v_dual_mul_f32 v8, v114, v54 :: v_dual_sub_f32 v9, v20, v11
	s_delay_alu instid0(VALU_DEP_4) | instskip(NEXT) | instid1(VALU_DEP_3)
	v_sub_f32_e32 v2, v6, v2
	v_fmamk_f32 v0, v4, 0xbf3504f3, v10
	s_delay_alu instid0(VALU_DEP_3) | instskip(SKIP_1) | instid1(VALU_DEP_4)
	v_fma_f32 v34, v113, v55, -v8
	v_dual_add_f32 v8, v17, v13 :: v_dual_fmac_f32 v1, 0xbf3504f3, v4
	v_fma_f32 v4, v6, 2.0, -v2
	v_fmamk_f32 v11, v26, 0x3f3504f3, v25
	v_fma_f32 v13, v20, 2.0, -v9
	s_delay_alu instid0(VALU_DEP_4) | instskip(SKIP_1) | instid1(VALU_DEP_4)
	v_fma_f32 v12, v17, 2.0, -v8
	v_dual_sub_f32 v17, v22, v36 :: v_dual_fmac_f32 v0, 0x3f3504f3, v5
	v_fmac_f32_e32 v11, 0xbf3504f3, v16
	v_fma_f32 v5, v7, 2.0, -v3
	v_fma_f32 v7, v27, 2.0, -v1
	v_sub_f32_e32 v20, v33, v24
	v_fma_f32 v6, v10, 2.0, -v0
	v_fmamk_f32 v10, v16, 0x3f3504f3, v21
	v_fma_f32 v16, v22, 2.0, -v17
	v_sub_f32_e32 v22, v28, v35
	v_fma_f32 v24, v30, 2.0, -v15
	s_delay_alu instid0(VALU_DEP_4) | instskip(NEXT) | instid1(VALU_DEP_3)
	v_fmac_f32_e32 v10, 0x3f3504f3, v26
	v_fma_f32 v27, v28, 2.0, -v22
	v_fma_f32 v28, v29, 2.0, -v19
	v_sub_f32_e32 v29, v32, v34
	v_sub_f32_e32 v14, v23, v14
	;; [unrolled: 1-line block ×3, first 2 shown]
	v_fma_f32 v26, v33, 2.0, -v20
	v_sub_f32_e32 v30, v16, v24
	s_delay_alu instid0(VALU_DEP_3) | instskip(SKIP_3) | instid1(VALU_DEP_4)
	v_fma_f32 v24, v31, 2.0, -v18
	v_add_f32_e32 v31, v17, v20
	v_fma_f32 v23, v23, 2.0, -v14
	v_fma_f32 v20, v32, 2.0, -v29
	v_dual_sub_f32 v32, v14, v15 :: v_dual_sub_f32 v35, v27, v24
	s_delay_alu instid0(VALU_DEP_4) | instskip(NEXT) | instid1(VALU_DEP_4)
	v_fma_f32 v34, v17, 2.0, -v31
	v_sub_f32_e32 v33, v23, v26
	v_add_f32_e32 v29, v22, v29
	v_sub_f32_e32 v37, v19, v18
	v_fma_f32 v26, v16, 2.0, -v30
	v_fma_f32 v38, v14, 2.0, -v32
	v_fma_f32 v23, v23, 2.0, -v33
	v_sub_f32_e32 v36, v28, v20
	v_fma_f32 v15, v27, 2.0, -v35
	v_fma_f32 v24, v19, 2.0, -v37
	;; [unrolled: 1-line block ×5, first 2 shown]
	s_delay_alu instid0(VALU_DEP_4) | instskip(NEXT) | instid1(VALU_DEP_4)
	v_dual_sub_f32 v16, v26, v15 :: v_dual_fmamk_f32 v19, v24, 0xbf3504f3, v38
	v_dual_fmamk_f32 v18, v22, 0xbf3504f3, v34 :: v_dual_sub_f32 v27, v33, v35
	s_delay_alu instid0(VALU_DEP_3) | instskip(NEXT) | instid1(VALU_DEP_3)
	v_sub_f32_e32 v17, v23, v17
	v_fma_f32 v20, v26, 2.0, -v16
	s_delay_alu instid0(VALU_DEP_4) | instskip(SKIP_4) | instid1(VALU_DEP_4)
	v_fmac_f32_e32 v19, 0xbf3504f3, v22
	v_fmamk_f32 v22, v29, 0x3f3504f3, v31
	v_fmac_f32_e32 v18, 0x3f3504f3, v24
	v_fma_f32 v21, v23, 2.0, -v17
	v_dual_fmamk_f32 v23, v37, 0x3f3504f3, v32 :: v_dual_add_f32 v26, v30, v36
	v_fmac_f32_e32 v22, 0x3f3504f3, v37
	v_fma_f32 v15, v25, 2.0, -v11
	v_fma_f32 v24, v34, 2.0, -v18
	s_delay_alu instid0(VALU_DEP_4)
	v_fmac_f32_e32 v23, 0xbf3504f3, v29
	v_fma_f32 v25, v38, 2.0, -v19
	v_fma_f32 v28, v30, 2.0, -v26
	v_fma_f32 v29, v33, 2.0, -v27
	v_fma_f32 v30, v31, 2.0, -v22
	v_fma_f32 v31, v32, 2.0, -v23
	ds_store_2addr_b64 v129, v[4:5], v[20:21] offset1:102
	ds_store_2addr_b64 v56, v[6:7], v[24:25] offset0:76 offset1:178
	ds_store_2addr_b64 v57, v[12:13], v[28:29] offset0:152 offset1:254
	ds_store_2addr_b64 v58, v[14:15], v[30:31] offset0:100 offset1:202
	ds_store_2addr_b64 v59, v[2:3], v[16:17] offset0:48 offset1:150
	ds_store_2addr_b64 v60, v[0:1], v[18:19] offset0:124 offset1:226
	ds_store_2addr_b64 v61, v[8:9], v[26:27] offset0:72 offset1:174
	ds_store_2addr_b64 v62, v[10:11], v[22:23] offset0:148 offset1:250
	global_wb scope:SCOPE_SE
	s_wait_dscnt 0x0
	s_barrier_signal -1
	s_barrier_wait -1
	global_inv scope:SCOPE_SE
	s_and_b32 exec_lo, exec_lo, vcc_lo
	s_cbranch_execz .LBB0_23
; %bb.22:
	global_load_b64 v[0:1], v124, s[12:13]
	ds_load_b64 v[2:3], v129
	v_mad_co_u64_u32 v[6:7], null, s4, v128, 0
	s_mov_b32 s0, 0x14141414
	s_mov_b32 s1, 0x3f441414
	s_mul_u64 s[2:3], s[4:5], 0x300
	s_wait_loadcnt_dscnt 0x0
	v_mul_f32_e32 v4, v3, v1
	v_mul_f32_e32 v1, v2, v1
	s_delay_alu instid0(VALU_DEP_2) | instskip(NEXT) | instid1(VALU_DEP_2)
	v_fmac_f32_e32 v4, v2, v0
	v_fma_f32 v2, v0, v3, -v1
	s_delay_alu instid0(VALU_DEP_2) | instskip(NEXT) | instid1(VALU_DEP_2)
	v_cvt_f64_f32_e32 v[0:1], v4
	v_cvt_f64_f32_e32 v[2:3], v2
	v_mad_co_u64_u32 v[4:5], null, s6, v242, 0
	s_wait_alu 0xfffe
	s_delay_alu instid0(VALU_DEP_3) | instskip(NEXT) | instid1(VALU_DEP_3)
	v_mul_f64_e32 v[0:1], s[0:1], v[0:1]
	v_mul_f64_e32 v[2:3], s[0:1], v[2:3]
	s_delay_alu instid0(VALU_DEP_2) | instskip(NEXT) | instid1(VALU_DEP_2)
	v_cvt_f32_f64_e32 v0, v[0:1]
	v_cvt_f32_f64_e32 v1, v[2:3]
	v_dual_mov_b32 v3, v7 :: v_dual_mov_b32 v2, v5
	s_delay_alu instid0(VALU_DEP_1) | instskip(SKIP_2) | instid1(VALU_DEP_2)
	v_mad_co_u64_u32 v[7:8], null, s7, v242, v[2:3]
	v_mad_co_u64_u32 v[2:3], null, s5, v128, v[3:4]
	s_mul_u64 s[6:7], s[4:5], 0x600
	v_mov_b32_e32 v5, v7
	s_delay_alu instid0(VALU_DEP_2) | instskip(NEXT) | instid1(VALU_DEP_2)
	v_mov_b32_e32 v7, v2
	v_lshlrev_b64_e32 v[2:3], 3, v[4:5]
	s_delay_alu instid0(VALU_DEP_2) | instskip(NEXT) | instid1(VALU_DEP_2)
	v_lshlrev_b64_e32 v[4:5], 3, v[6:7]
	v_add_co_u32 v8, vcc_lo, s14, v2
	s_delay_alu instid0(VALU_DEP_3) | instskip(NEXT) | instid1(VALU_DEP_2)
	v_add_co_ci_u32_e32 v9, vcc_lo, s15, v3, vcc_lo
	v_add_co_u32 v4, vcc_lo, v8, v4
	s_wait_alu 0xfffd
	s_delay_alu instid0(VALU_DEP_2)
	v_add_co_ci_u32_e32 v5, vcc_lo, v9, v5, vcc_lo
	global_store_b64 v[4:5], v[0:1], off
	global_load_b64 v[6:7], v124, s[12:13] offset:768
	ds_load_2addr_b64 v[0:3], v124 offset0:96 offset1:192
	v_add_co_u32 v4, vcc_lo, v4, s2
	s_wait_alu 0xfffd
	v_add_co_ci_u32_e32 v5, vcc_lo, s3, v5, vcc_lo
	s_wait_loadcnt_dscnt 0x0
	v_mul_f32_e32 v10, v1, v7
	v_mul_f32_e32 v7, v0, v7
	s_delay_alu instid0(VALU_DEP_2) | instskip(NEXT) | instid1(VALU_DEP_2)
	v_fmac_f32_e32 v10, v0, v6
	v_fma_f32 v6, v6, v1, -v7
	s_delay_alu instid0(VALU_DEP_2) | instskip(NEXT) | instid1(VALU_DEP_2)
	v_cvt_f64_f32_e32 v[0:1], v10
	v_cvt_f64_f32_e32 v[6:7], v6
	s_delay_alu instid0(VALU_DEP_2) | instskip(NEXT) | instid1(VALU_DEP_2)
	v_mul_f64_e32 v[0:1], s[0:1], v[0:1]
	v_mul_f64_e32 v[6:7], s[0:1], v[6:7]
	s_delay_alu instid0(VALU_DEP_2) | instskip(NEXT) | instid1(VALU_DEP_2)
	v_cvt_f32_f64_e32 v0, v[0:1]
	v_cvt_f32_f64_e32 v1, v[6:7]
	global_store_b64 v[4:5], v[0:1], off
	global_load_b64 v[0:1], v124, s[12:13] offset:1536
	v_add_co_u32 v4, vcc_lo, v4, s2
	s_wait_alu 0xfffd
	v_add_co_ci_u32_e32 v5, vcc_lo, s3, v5, vcc_lo
	s_wait_loadcnt 0x0
	v_mul_f32_e32 v6, v3, v1
	v_mul_f32_e32 v1, v2, v1
	s_delay_alu instid0(VALU_DEP_2) | instskip(NEXT) | instid1(VALU_DEP_2)
	v_fmac_f32_e32 v6, v2, v0
	v_fma_f32 v2, v0, v3, -v1
	s_delay_alu instid0(VALU_DEP_2) | instskip(NEXT) | instid1(VALU_DEP_2)
	v_cvt_f64_f32_e32 v[0:1], v6
	v_cvt_f64_f32_e32 v[2:3], v2
	s_delay_alu instid0(VALU_DEP_2) | instskip(NEXT) | instid1(VALU_DEP_2)
	v_mul_f64_e32 v[0:1], s[0:1], v[0:1]
	v_mul_f64_e32 v[2:3], s[0:1], v[2:3]
	s_delay_alu instid0(VALU_DEP_2) | instskip(NEXT) | instid1(VALU_DEP_2)
	v_cvt_f32_f64_e32 v0, v[0:1]
	v_cvt_f32_f64_e32 v1, v[2:3]
	global_store_b64 v[4:5], v[0:1], off
	global_load_b64 v[6:7], v124, s[12:13] offset:2304
	v_add_nc_u32_e32 v0, 0x800, v124
	v_add_co_u32 v4, vcc_lo, v4, s2
	s_wait_alu 0xfffd
	v_add_co_ci_u32_e32 v5, vcc_lo, s3, v5, vcc_lo
	ds_load_2addr_b64 v[0:3], v0 offset0:32 offset1:128
	s_wait_loadcnt_dscnt 0x0
	v_mul_f32_e32 v10, v1, v7
	v_mul_f32_e32 v7, v0, v7
	s_delay_alu instid0(VALU_DEP_2) | instskip(NEXT) | instid1(VALU_DEP_2)
	v_fmac_f32_e32 v10, v0, v6
	v_fma_f32 v6, v6, v1, -v7
	s_delay_alu instid0(VALU_DEP_2) | instskip(NEXT) | instid1(VALU_DEP_2)
	v_cvt_f64_f32_e32 v[0:1], v10
	v_cvt_f64_f32_e32 v[6:7], v6
	s_delay_alu instid0(VALU_DEP_2) | instskip(NEXT) | instid1(VALU_DEP_2)
	v_mul_f64_e32 v[0:1], s[0:1], v[0:1]
	v_mul_f64_e32 v[6:7], s[0:1], v[6:7]
	s_delay_alu instid0(VALU_DEP_2) | instskip(NEXT) | instid1(VALU_DEP_2)
	v_cvt_f32_f64_e32 v0, v[0:1]
	v_cvt_f32_f64_e32 v1, v[6:7]
	global_store_b64 v[4:5], v[0:1], off
	global_load_b64 v[0:1], v124, s[12:13] offset:3072
	s_wait_loadcnt 0x0
	v_mul_f32_e32 v6, v3, v1
	v_mul_f32_e32 v1, v2, v1
	s_delay_alu instid0(VALU_DEP_2) | instskip(NEXT) | instid1(VALU_DEP_2)
	v_fmac_f32_e32 v6, v2, v0
	v_fma_f32 v2, v0, v3, -v1
	s_delay_alu instid0(VALU_DEP_2) | instskip(NEXT) | instid1(VALU_DEP_2)
	v_cvt_f64_f32_e32 v[0:1], v6
	v_cvt_f64_f32_e32 v[2:3], v2
	v_mad_co_u64_u32 v[6:7], null, s4, v241, 0
	s_delay_alu instid0(VALU_DEP_3) | instskip(NEXT) | instid1(VALU_DEP_3)
	v_mul_f64_e32 v[0:1], s[0:1], v[0:1]
	v_mul_f64_e32 v[2:3], s[0:1], v[2:3]
	s_delay_alu instid0(VALU_DEP_2) | instskip(NEXT) | instid1(VALU_DEP_2)
	v_cvt_f32_f64_e32 v0, v[0:1]
	v_cvt_f32_f64_e32 v1, v[2:3]
	v_mov_b32_e32 v2, v7
	s_delay_alu instid0(VALU_DEP_1) | instskip(NEXT) | instid1(VALU_DEP_1)
	v_mad_co_u64_u32 v[2:3], null, s5, v241, v[2:3]
	v_mov_b32_e32 v7, v2
	s_delay_alu instid0(VALU_DEP_1) | instskip(NEXT) | instid1(VALU_DEP_1)
	v_lshlrev_b64_e32 v[2:3], 3, v[6:7]
	v_add_co_u32 v2, vcc_lo, v8, v2
	s_wait_alu 0xfffd
	s_delay_alu instid0(VALU_DEP_2)
	v_add_co_ci_u32_e32 v3, vcc_lo, v9, v3, vcc_lo
	s_wait_alu 0xfffe
	v_add_co_u32 v4, vcc_lo, v4, s6
	s_wait_alu 0xfffd
	v_add_co_ci_u32_e32 v5, vcc_lo, s7, v5, vcc_lo
	global_store_b64 v[2:3], v[0:1], off
	global_load_b64 v[6:7], v124, s[12:13] offset:3840
	v_add_nc_u32_e32 v0, 0xc00, v124
	ds_load_2addr_b64 v[0:3], v0 offset0:96 offset1:192
	s_wait_loadcnt_dscnt 0x0
	v_mul_f32_e32 v10, v1, v7
	v_mul_f32_e32 v7, v0, v7
	s_delay_alu instid0(VALU_DEP_2) | instskip(NEXT) | instid1(VALU_DEP_2)
	v_fmac_f32_e32 v10, v0, v6
	v_fma_f32 v6, v6, v1, -v7
	s_delay_alu instid0(VALU_DEP_2) | instskip(NEXT) | instid1(VALU_DEP_2)
	v_cvt_f64_f32_e32 v[0:1], v10
	v_cvt_f64_f32_e32 v[6:7], v6
	s_delay_alu instid0(VALU_DEP_2) | instskip(NEXT) | instid1(VALU_DEP_2)
	v_mul_f64_e32 v[0:1], s[0:1], v[0:1]
	v_mul_f64_e32 v[6:7], s[0:1], v[6:7]
	s_delay_alu instid0(VALU_DEP_2) | instskip(NEXT) | instid1(VALU_DEP_2)
	v_cvt_f32_f64_e32 v0, v[0:1]
	v_cvt_f32_f64_e32 v1, v[6:7]
	global_store_b64 v[4:5], v[0:1], off
	global_load_b64 v[0:1], v124, s[12:13] offset:4608
	v_add_co_u32 v4, vcc_lo, v4, s2
	s_wait_alu 0xfffd
	v_add_co_ci_u32_e32 v5, vcc_lo, s3, v5, vcc_lo
	s_wait_loadcnt 0x0
	v_mul_f32_e32 v6, v3, v1
	v_mul_f32_e32 v1, v2, v1
	s_delay_alu instid0(VALU_DEP_2) | instskip(NEXT) | instid1(VALU_DEP_2)
	v_fmac_f32_e32 v6, v2, v0
	v_fma_f32 v2, v0, v3, -v1
	s_delay_alu instid0(VALU_DEP_2) | instskip(NEXT) | instid1(VALU_DEP_2)
	v_cvt_f64_f32_e32 v[0:1], v6
	v_cvt_f64_f32_e32 v[2:3], v2
	s_delay_alu instid0(VALU_DEP_2) | instskip(NEXT) | instid1(VALU_DEP_2)
	v_mul_f64_e32 v[0:1], s[0:1], v[0:1]
	v_mul_f64_e32 v[2:3], s[0:1], v[2:3]
	s_delay_alu instid0(VALU_DEP_2) | instskip(NEXT) | instid1(VALU_DEP_2)
	v_cvt_f32_f64_e32 v0, v[0:1]
	v_cvt_f32_f64_e32 v1, v[2:3]
	global_store_b64 v[4:5], v[0:1], off
	global_load_b64 v[6:7], v124, s[12:13] offset:5376
	v_add_nc_u32_e32 v0, 0x1400, v124
	v_add_co_u32 v4, vcc_lo, v4, s2
	s_wait_alu 0xfffd
	v_add_co_ci_u32_e32 v5, vcc_lo, s3, v5, vcc_lo
	ds_load_2addr_b64 v[0:3], v0 offset0:32 offset1:128
	s_wait_loadcnt_dscnt 0x0
	v_mul_f32_e32 v10, v1, v7
	v_mul_f32_e32 v7, v0, v7
	s_delay_alu instid0(VALU_DEP_2) | instskip(NEXT) | instid1(VALU_DEP_2)
	v_fmac_f32_e32 v10, v0, v6
	v_fma_f32 v6, v6, v1, -v7
	s_delay_alu instid0(VALU_DEP_2) | instskip(NEXT) | instid1(VALU_DEP_2)
	v_cvt_f64_f32_e32 v[0:1], v10
	v_cvt_f64_f32_e32 v[6:7], v6
	s_delay_alu instid0(VALU_DEP_2) | instskip(NEXT) | instid1(VALU_DEP_2)
	v_mul_f64_e32 v[0:1], s[0:1], v[0:1]
	v_mul_f64_e32 v[6:7], s[0:1], v[6:7]
	s_delay_alu instid0(VALU_DEP_2) | instskip(NEXT) | instid1(VALU_DEP_2)
	v_cvt_f32_f64_e32 v0, v[0:1]
	v_cvt_f32_f64_e32 v1, v[6:7]
	global_store_b64 v[4:5], v[0:1], off
	global_load_b64 v[0:1], v124, s[12:13] offset:6144
	s_wait_loadcnt 0x0
	v_mul_f32_e32 v6, v3, v1
	v_mul_f32_e32 v1, v2, v1
	s_delay_alu instid0(VALU_DEP_2) | instskip(NEXT) | instid1(VALU_DEP_2)
	v_fmac_f32_e32 v6, v2, v0
	v_fma_f32 v2, v0, v3, -v1
	s_delay_alu instid0(VALU_DEP_2) | instskip(NEXT) | instid1(VALU_DEP_2)
	v_cvt_f64_f32_e32 v[0:1], v6
	v_cvt_f64_f32_e32 v[2:3], v2
	v_mad_co_u64_u32 v[6:7], null, s4, v240, 0
	s_delay_alu instid0(VALU_DEP_3) | instskip(NEXT) | instid1(VALU_DEP_3)
	v_mul_f64_e32 v[0:1], s[0:1], v[0:1]
	v_mul_f64_e32 v[2:3], s[0:1], v[2:3]
	s_delay_alu instid0(VALU_DEP_2) | instskip(NEXT) | instid1(VALU_DEP_2)
	v_cvt_f32_f64_e32 v0, v[0:1]
	v_cvt_f32_f64_e32 v1, v[2:3]
	v_mov_b32_e32 v2, v7
	s_delay_alu instid0(VALU_DEP_1) | instskip(NEXT) | instid1(VALU_DEP_1)
	v_mad_co_u64_u32 v[2:3], null, s5, v240, v[2:3]
	v_mov_b32_e32 v7, v2
	s_delay_alu instid0(VALU_DEP_1) | instskip(NEXT) | instid1(VALU_DEP_1)
	v_lshlrev_b64_e32 v[2:3], 3, v[6:7]
	v_add_co_u32 v2, vcc_lo, v8, v2
	s_wait_alu 0xfffd
	s_delay_alu instid0(VALU_DEP_2)
	v_add_co_ci_u32_e32 v3, vcc_lo, v9, v3, vcc_lo
	v_add_co_u32 v4, vcc_lo, v4, s6
	s_wait_alu 0xfffd
	v_add_co_ci_u32_e32 v5, vcc_lo, s7, v5, vcc_lo
	global_store_b64 v[2:3], v[0:1], off
	global_load_b64 v[6:7], v124, s[12:13] offset:6912
	v_add_nc_u32_e32 v0, 0x1800, v124
	ds_load_2addr_b64 v[0:3], v0 offset0:96 offset1:192
	s_wait_loadcnt_dscnt 0x0
	v_mul_f32_e32 v10, v1, v7
	v_mul_f32_e32 v7, v0, v7
	s_delay_alu instid0(VALU_DEP_2) | instskip(NEXT) | instid1(VALU_DEP_2)
	v_fmac_f32_e32 v10, v0, v6
	v_fma_f32 v6, v6, v1, -v7
	s_delay_alu instid0(VALU_DEP_2) | instskip(NEXT) | instid1(VALU_DEP_2)
	v_cvt_f64_f32_e32 v[0:1], v10
	v_cvt_f64_f32_e32 v[6:7], v6
	s_delay_alu instid0(VALU_DEP_2) | instskip(NEXT) | instid1(VALU_DEP_2)
	v_mul_f64_e32 v[0:1], s[0:1], v[0:1]
	v_mul_f64_e32 v[6:7], s[0:1], v[6:7]
	s_delay_alu instid0(VALU_DEP_2) | instskip(NEXT) | instid1(VALU_DEP_2)
	v_cvt_f32_f64_e32 v0, v[0:1]
	v_cvt_f32_f64_e32 v1, v[6:7]
	global_store_b64 v[4:5], v[0:1], off
	global_load_b64 v[0:1], v124, s[12:13] offset:7680
	v_add_co_u32 v4, vcc_lo, v4, s2
	s_wait_alu 0xfffd
	v_add_co_ci_u32_e32 v5, vcc_lo, s3, v5, vcc_lo
	s_wait_loadcnt 0x0
	v_mul_f32_e32 v6, v3, v1
	v_mul_f32_e32 v1, v2, v1
	s_delay_alu instid0(VALU_DEP_2) | instskip(NEXT) | instid1(VALU_DEP_2)
	v_fmac_f32_e32 v6, v2, v0
	v_fma_f32 v2, v0, v3, -v1
	s_delay_alu instid0(VALU_DEP_2) | instskip(NEXT) | instid1(VALU_DEP_2)
	v_cvt_f64_f32_e32 v[0:1], v6
	v_cvt_f64_f32_e32 v[2:3], v2
	s_delay_alu instid0(VALU_DEP_2) | instskip(NEXT) | instid1(VALU_DEP_2)
	v_mul_f64_e32 v[0:1], s[0:1], v[0:1]
	v_mul_f64_e32 v[2:3], s[0:1], v[2:3]
	s_delay_alu instid0(VALU_DEP_2) | instskip(NEXT) | instid1(VALU_DEP_2)
	v_cvt_f32_f64_e32 v0, v[0:1]
	v_cvt_f32_f64_e32 v1, v[2:3]
	global_store_b64 v[4:5], v[0:1], off
	global_load_b64 v[6:7], v124, s[12:13] offset:8448
	v_add_nc_u32_e32 v0, 0x2000, v124
	v_add_co_u32 v4, vcc_lo, v4, s2
	s_wait_alu 0xfffd
	v_add_co_ci_u32_e32 v5, vcc_lo, s3, v5, vcc_lo
	ds_load_2addr_b64 v[0:3], v0 offset0:32 offset1:128
	s_wait_loadcnt_dscnt 0x0
	v_mul_f32_e32 v10, v1, v7
	v_mul_f32_e32 v7, v0, v7
	s_delay_alu instid0(VALU_DEP_2) | instskip(NEXT) | instid1(VALU_DEP_2)
	v_fmac_f32_e32 v10, v0, v6
	v_fma_f32 v6, v6, v1, -v7
	s_delay_alu instid0(VALU_DEP_2) | instskip(NEXT) | instid1(VALU_DEP_2)
	v_cvt_f64_f32_e32 v[0:1], v10
	v_cvt_f64_f32_e32 v[6:7], v6
	s_delay_alu instid0(VALU_DEP_2) | instskip(NEXT) | instid1(VALU_DEP_2)
	v_mul_f64_e32 v[0:1], s[0:1], v[0:1]
	v_mul_f64_e32 v[6:7], s[0:1], v[6:7]
	s_delay_alu instid0(VALU_DEP_2) | instskip(NEXT) | instid1(VALU_DEP_2)
	v_cvt_f32_f64_e32 v0, v[0:1]
	v_cvt_f32_f64_e32 v1, v[6:7]
	global_store_b64 v[4:5], v[0:1], off
	global_load_b64 v[0:1], v124, s[12:13] offset:9216
	s_wait_loadcnt 0x0
	v_mul_f32_e32 v6, v3, v1
	v_mul_f32_e32 v1, v2, v1
	s_delay_alu instid0(VALU_DEP_2) | instskip(NEXT) | instid1(VALU_DEP_2)
	v_fmac_f32_e32 v6, v2, v0
	v_fma_f32 v2, v0, v3, -v1
	s_delay_alu instid0(VALU_DEP_2) | instskip(NEXT) | instid1(VALU_DEP_2)
	v_cvt_f64_f32_e32 v[0:1], v6
	v_cvt_f64_f32_e32 v[2:3], v2
	v_mad_co_u64_u32 v[6:7], null, s4, v239, 0
	s_delay_alu instid0(VALU_DEP_3) | instskip(NEXT) | instid1(VALU_DEP_3)
	v_mul_f64_e32 v[0:1], s[0:1], v[0:1]
	v_mul_f64_e32 v[2:3], s[0:1], v[2:3]
	s_delay_alu instid0(VALU_DEP_2) | instskip(NEXT) | instid1(VALU_DEP_2)
	v_cvt_f32_f64_e32 v0, v[0:1]
	v_cvt_f32_f64_e32 v1, v[2:3]
	v_mov_b32_e32 v2, v7
	s_delay_alu instid0(VALU_DEP_1) | instskip(NEXT) | instid1(VALU_DEP_1)
	v_mad_co_u64_u32 v[2:3], null, s5, v239, v[2:3]
	v_mov_b32_e32 v7, v2
	s_delay_alu instid0(VALU_DEP_1) | instskip(NEXT) | instid1(VALU_DEP_1)
	v_lshlrev_b64_e32 v[2:3], 3, v[6:7]
	v_add_co_u32 v2, vcc_lo, v8, v2
	s_wait_alu 0xfffd
	s_delay_alu instid0(VALU_DEP_2)
	v_add_co_ci_u32_e32 v3, vcc_lo, v9, v3, vcc_lo
	v_add_co_u32 v4, vcc_lo, v4, s6
	s_wait_alu 0xfffd
	v_add_co_ci_u32_e32 v5, vcc_lo, s7, v5, vcc_lo
	global_store_b64 v[2:3], v[0:1], off
	global_load_b64 v[6:7], v124, s[12:13] offset:9984
	v_add_nc_u32_e32 v0, 0x2400, v124
	ds_load_2addr_b64 v[0:3], v0 offset0:96 offset1:192
	s_wait_loadcnt_dscnt 0x0
	v_mul_f32_e32 v10, v1, v7
	v_mul_f32_e32 v7, v0, v7
	s_delay_alu instid0(VALU_DEP_2) | instskip(NEXT) | instid1(VALU_DEP_2)
	v_fmac_f32_e32 v10, v0, v6
	v_fma_f32 v6, v6, v1, -v7
	s_delay_alu instid0(VALU_DEP_2) | instskip(NEXT) | instid1(VALU_DEP_2)
	v_cvt_f64_f32_e32 v[0:1], v10
	v_cvt_f64_f32_e32 v[6:7], v6
	s_delay_alu instid0(VALU_DEP_2) | instskip(NEXT) | instid1(VALU_DEP_2)
	v_mul_f64_e32 v[0:1], s[0:1], v[0:1]
	v_mul_f64_e32 v[6:7], s[0:1], v[6:7]
	s_delay_alu instid0(VALU_DEP_2) | instskip(NEXT) | instid1(VALU_DEP_2)
	v_cvt_f32_f64_e32 v0, v[0:1]
	v_cvt_f32_f64_e32 v1, v[6:7]
	global_store_b64 v[4:5], v[0:1], off
	global_load_b64 v[0:1], v124, s[12:13] offset:10752
	v_add_co_u32 v4, vcc_lo, v4, s2
	s_wait_alu 0xfffd
	v_add_co_ci_u32_e32 v5, vcc_lo, s3, v5, vcc_lo
	s_wait_loadcnt 0x0
	v_mul_f32_e32 v6, v3, v1
	v_mul_f32_e32 v1, v2, v1
	s_delay_alu instid0(VALU_DEP_2) | instskip(NEXT) | instid1(VALU_DEP_2)
	v_fmac_f32_e32 v6, v2, v0
	v_fma_f32 v2, v0, v3, -v1
	s_delay_alu instid0(VALU_DEP_2) | instskip(NEXT) | instid1(VALU_DEP_2)
	v_cvt_f64_f32_e32 v[0:1], v6
	v_cvt_f64_f32_e32 v[2:3], v2
	s_delay_alu instid0(VALU_DEP_2) | instskip(NEXT) | instid1(VALU_DEP_2)
	v_mul_f64_e32 v[0:1], s[0:1], v[0:1]
	v_mul_f64_e32 v[2:3], s[0:1], v[2:3]
	s_delay_alu instid0(VALU_DEP_2) | instskip(NEXT) | instid1(VALU_DEP_2)
	v_cvt_f32_f64_e32 v0, v[0:1]
	v_cvt_f32_f64_e32 v1, v[2:3]
	global_store_b64 v[4:5], v[0:1], off
	global_load_b64 v[6:7], v124, s[12:13] offset:11520
	v_add_nc_u32_e32 v0, 0x2c00, v124
	v_add_co_u32 v4, vcc_lo, v4, s2
	s_wait_alu 0xfffd
	v_add_co_ci_u32_e32 v5, vcc_lo, s3, v5, vcc_lo
	ds_load_2addr_b64 v[0:3], v0 offset0:32 offset1:128
	s_wait_loadcnt_dscnt 0x0
	v_mul_f32_e32 v10, v1, v7
	v_mul_f32_e32 v7, v0, v7
	s_delay_alu instid0(VALU_DEP_2) | instskip(NEXT) | instid1(VALU_DEP_2)
	v_fmac_f32_e32 v10, v0, v6
	v_fma_f32 v6, v6, v1, -v7
	s_delay_alu instid0(VALU_DEP_2) | instskip(NEXT) | instid1(VALU_DEP_2)
	v_cvt_f64_f32_e32 v[0:1], v10
	v_cvt_f64_f32_e32 v[6:7], v6
	s_delay_alu instid0(VALU_DEP_2) | instskip(NEXT) | instid1(VALU_DEP_2)
	v_mul_f64_e32 v[0:1], s[0:1], v[0:1]
	v_mul_f64_e32 v[6:7], s[0:1], v[6:7]
	s_delay_alu instid0(VALU_DEP_2) | instskip(NEXT) | instid1(VALU_DEP_2)
	v_cvt_f32_f64_e32 v0, v[0:1]
	v_cvt_f32_f64_e32 v1, v[6:7]
	global_store_b64 v[4:5], v[0:1], off
	global_load_b64 v[0:1], v124, s[12:13] offset:12288
	s_wait_loadcnt 0x0
	v_mul_f32_e32 v4, v3, v1
	v_mul_f32_e32 v1, v2, v1
	s_delay_alu instid0(VALU_DEP_2) | instskip(NEXT) | instid1(VALU_DEP_2)
	v_fmac_f32_e32 v4, v2, v0
	v_fma_f32 v2, v0, v3, -v1
	s_delay_alu instid0(VALU_DEP_2) | instskip(NEXT) | instid1(VALU_DEP_2)
	v_cvt_f64_f32_e32 v[0:1], v4
	v_cvt_f64_f32_e32 v[2:3], v2
	v_mad_co_u64_u32 v[4:5], null, s4, v238, 0
	s_delay_alu instid0(VALU_DEP_3) | instskip(NEXT) | instid1(VALU_DEP_3)
	v_mul_f64_e32 v[0:1], s[0:1], v[0:1]
	v_mul_f64_e32 v[2:3], s[0:1], v[2:3]
	s_delay_alu instid0(VALU_DEP_2) | instskip(NEXT) | instid1(VALU_DEP_2)
	v_cvt_f32_f64_e32 v0, v[0:1]
	v_cvt_f32_f64_e32 v1, v[2:3]
	v_mov_b32_e32 v2, v5
	s_delay_alu instid0(VALU_DEP_1) | instskip(NEXT) | instid1(VALU_DEP_1)
	v_mad_co_u64_u32 v[2:3], null, s5, v238, v[2:3]
	v_mov_b32_e32 v5, v2
	s_delay_alu instid0(VALU_DEP_1) | instskip(NEXT) | instid1(VALU_DEP_1)
	v_lshlrev_b64_e32 v[2:3], 3, v[4:5]
	v_add_co_u32 v2, vcc_lo, v8, v2
	s_wait_alu 0xfffd
	s_delay_alu instid0(VALU_DEP_2)
	v_add_co_ci_u32_e32 v3, vcc_lo, v9, v3, vcc_lo
	global_store_b64 v[2:3], v[0:1], off
.LBB0_23:
	s_nop 0
	s_sendmsg sendmsg(MSG_DEALLOC_VGPRS)
	s_endpgm
	.section	.rodata,"a",@progbits
	.p2align	6, 0x0
	.amdhsa_kernel bluestein_single_fwd_len1632_dim1_sp_op_CI_CI
		.amdhsa_group_segment_fixed_size 13056
		.amdhsa_private_segment_fixed_size 88
		.amdhsa_kernarg_size 104
		.amdhsa_user_sgpr_count 2
		.amdhsa_user_sgpr_dispatch_ptr 0
		.amdhsa_user_sgpr_queue_ptr 0
		.amdhsa_user_sgpr_kernarg_segment_ptr 1
		.amdhsa_user_sgpr_dispatch_id 0
		.amdhsa_user_sgpr_private_segment_size 0
		.amdhsa_wavefront_size32 1
		.amdhsa_uses_dynamic_stack 0
		.amdhsa_enable_private_segment 1
		.amdhsa_system_sgpr_workgroup_id_x 1
		.amdhsa_system_sgpr_workgroup_id_y 0
		.amdhsa_system_sgpr_workgroup_id_z 0
		.amdhsa_system_sgpr_workgroup_info 0
		.amdhsa_system_vgpr_workitem_id 0
		.amdhsa_next_free_vgpr 256
		.amdhsa_next_free_sgpr 16
		.amdhsa_reserve_vcc 1
		.amdhsa_float_round_mode_32 0
		.amdhsa_float_round_mode_16_64 0
		.amdhsa_float_denorm_mode_32 3
		.amdhsa_float_denorm_mode_16_64 3
		.amdhsa_fp16_overflow 0
		.amdhsa_workgroup_processor_mode 1
		.amdhsa_memory_ordered 1
		.amdhsa_forward_progress 0
		.amdhsa_round_robin_scheduling 0
		.amdhsa_exception_fp_ieee_invalid_op 0
		.amdhsa_exception_fp_denorm_src 0
		.amdhsa_exception_fp_ieee_div_zero 0
		.amdhsa_exception_fp_ieee_overflow 0
		.amdhsa_exception_fp_ieee_underflow 0
		.amdhsa_exception_fp_ieee_inexact 0
		.amdhsa_exception_int_div_zero 0
	.end_amdhsa_kernel
	.text
.Lfunc_end0:
	.size	bluestein_single_fwd_len1632_dim1_sp_op_CI_CI, .Lfunc_end0-bluestein_single_fwd_len1632_dim1_sp_op_CI_CI
                                        ; -- End function
	.section	.AMDGPU.csdata,"",@progbits
; Kernel info:
; codeLenInByte = 25796
; NumSgprs: 18
; NumVgprs: 256
; ScratchSize: 88
; MemoryBound: 0
; FloatMode: 240
; IeeeMode: 1
; LDSByteSize: 13056 bytes/workgroup (compile time only)
; SGPRBlocks: 2
; VGPRBlocks: 31
; NumSGPRsForWavesPerEU: 18
; NumVGPRsForWavesPerEU: 256
; Occupancy: 5
; WaveLimiterHint : 1
; COMPUTE_PGM_RSRC2:SCRATCH_EN: 1
; COMPUTE_PGM_RSRC2:USER_SGPR: 2
; COMPUTE_PGM_RSRC2:TRAP_HANDLER: 0
; COMPUTE_PGM_RSRC2:TGID_X_EN: 1
; COMPUTE_PGM_RSRC2:TGID_Y_EN: 0
; COMPUTE_PGM_RSRC2:TGID_Z_EN: 0
; COMPUTE_PGM_RSRC2:TIDIG_COMP_CNT: 0
	.text
	.p2alignl 7, 3214868480
	.fill 96, 4, 3214868480
	.type	__hip_cuid_7aef07bcf8c056ee,@object ; @__hip_cuid_7aef07bcf8c056ee
	.section	.bss,"aw",@nobits
	.globl	__hip_cuid_7aef07bcf8c056ee
__hip_cuid_7aef07bcf8c056ee:
	.byte	0                               ; 0x0
	.size	__hip_cuid_7aef07bcf8c056ee, 1

	.ident	"AMD clang version 19.0.0git (https://github.com/RadeonOpenCompute/llvm-project roc-6.4.0 25133 c7fe45cf4b819c5991fe208aaa96edf142730f1d)"
	.section	".note.GNU-stack","",@progbits
	.addrsig
	.addrsig_sym __hip_cuid_7aef07bcf8c056ee
	.amdgpu_metadata
---
amdhsa.kernels:
  - .args:
      - .actual_access:  read_only
        .address_space:  global
        .offset:         0
        .size:           8
        .value_kind:     global_buffer
      - .actual_access:  read_only
        .address_space:  global
        .offset:         8
        .size:           8
        .value_kind:     global_buffer
      - .actual_access:  read_only
        .address_space:  global
        .offset:         16
        .size:           8
        .value_kind:     global_buffer
      - .actual_access:  read_only
        .address_space:  global
        .offset:         24
        .size:           8
        .value_kind:     global_buffer
      - .actual_access:  read_only
        .address_space:  global
        .offset:         32
        .size:           8
        .value_kind:     global_buffer
      - .offset:         40
        .size:           8
        .value_kind:     by_value
      - .address_space:  global
        .offset:         48
        .size:           8
        .value_kind:     global_buffer
      - .address_space:  global
        .offset:         56
        .size:           8
        .value_kind:     global_buffer
      - .address_space:  global
        .offset:         64
        .size:           8
        .value_kind:     global_buffer
      - .address_space:  global
        .offset:         72
        .size:           8
        .value_kind:     global_buffer
      - .offset:         80
        .size:           4
        .value_kind:     by_value
      - .address_space:  global
        .offset:         88
        .size:           8
        .value_kind:     global_buffer
      - .address_space:  global
        .offset:         96
        .size:           8
        .value_kind:     global_buffer
    .group_segment_fixed_size: 13056
    .kernarg_segment_align: 8
    .kernarg_segment_size: 104
    .language:       OpenCL C
    .language_version:
      - 2
      - 0
    .max_flat_workgroup_size: 102
    .name:           bluestein_single_fwd_len1632_dim1_sp_op_CI_CI
    .private_segment_fixed_size: 88
    .sgpr_count:     18
    .sgpr_spill_count: 0
    .symbol:         bluestein_single_fwd_len1632_dim1_sp_op_CI_CI.kd
    .uniform_work_group_size: 1
    .uses_dynamic_stack: false
    .vgpr_count:     256
    .vgpr_spill_count: 21
    .wavefront_size: 32
    .workgroup_processor_mode: 1
amdhsa.target:   amdgcn-amd-amdhsa--gfx1201
amdhsa.version:
  - 1
  - 2
...

	.end_amdgpu_metadata
